;; amdgpu-corpus repo=ROCm/aiter kind=harvested arch=n/a opt=n/a

/root/src/amdgpu-assembly/repos/ROCm__aiter/hsa/gfx942/fmoe_2stages/fmoe_stage1_bf16_pertokenFp8_doweight_g1u1_32x128_3tg_pf2.co:	file format elf64-amdgpu

Disassembly of section .text:

0000000000002a00 <_ZN5aiter57fmoe_stage1_bf16_pertokenFp8_doweight_g1u1_32x128_3tg_pf2E>:
	s_and_b32 s1, s1, 0xffff                                   // 000000002A00: 8601FF01 0000FFFF
	s_load_dwordx2 s[8:9], s[0:1], 0x0                         // 000000002A08: C0060200 00000000
	s_load_dwordx2 s[20:21], s[0:1], 0x10                      // 000000002A10: C0060500 00000010
	s_load_dwordx2 s[24:25], s[0:1], 0x20                      // 000000002A18: C0060600 00000020
	s_load_dwordx2 s[48:49], s[0:1], 0x30                      // 000000002A20: C0060C00 00000030
	s_load_dwordx2 s[28:29], s[0:1], 0x40                      // 000000002A28: C0060700 00000040
	s_load_dwordx2 s[32:33], s[0:1], 0x50                      // 000000002A30: C0060800 00000050
	s_load_dwordx2 s[36:37], s[0:1], 0x60                      // 000000002A38: C0060900 00000060
	s_load_dwordx2 s[12:13], s[0:1], 0x70                      // 000000002A40: C0060300 00000070
	s_load_dwordx2 s[44:45], s[0:1], 0x80                      // 000000002A48: C0060B00 00000080
	s_mov_b32 s89, 0                                           // 000000002A50: BED90080
	s_load_dword s64, s[0:1], 0x90                             // 000000002A54: C0021000 00000090
	s_load_dword s65, s[0:1], 0xa0                             // 000000002A5C: C0021040 000000A0
	s_load_dword s66, s[0:1], 0xb0                             // 000000002A64: C0021080 000000B0
	s_load_dword s67, s[0:1], 0xc0                             // 000000002A6C: C00210C0 000000C0
	s_load_dword s68, s[0:1], 0xd0                             // 000000002A74: C0021100 000000D0
	s_load_dword s69, s[0:1], 0xe0                             // 000000002A7C: C0021140 000000E0
	s_load_dword s71, s[0:1], 0xf0                             // 000000002A84: C00211C0 000000F0
	s_load_dword s72, s[0:1], 0x100                            // 000000002A8C: C0021200 00000100
	s_load_dword s74, s[0:1], 0x110                            // 000000002A94: C0021280 00000110
	s_load_dword s76, s[0:1], 0x120                            // 000000002A9C: C0021300 00000120
	s_load_dword s56, s[0:1], 0x130                            // 000000002AA4: C0020E00 00000130
	s_load_dword s88, s[0:1], 0x140                            // 000000002AAC: C0021600 00000140
	s_load_dword s89, s[0:1], 0x150                            // 000000002AB4: C0021640 00000150
	s_load_dwordx2 s[40:41], s[0:1], 0x160                     // 000000002ABC: C0060A00 00000160
	v_lshrrev_b32_e32 v1, 10, v0                               // 000000002AC4: 2002008A
	v_lshrrev_b32_e32 v2, 10, v1                               // 000000002AC8: 2004028A
	v_and_b32_e32 v2, 0x3ff, v2                                // 000000002ACC: 260404FF 000003FF
	v_and_b32_e32 v1, 0x3ff, v1                                // 000000002AD4: 260202FF 000003FF
	v_and_b32_e32 v0, 0x3ff, v0                                // 000000002ADC: 260000FF 000003FF
	v_lshrrev_b32_e32 v3, 6, v0                                // 000000002AE4: 20060086
	v_and_b32_e32 v0, 63, v0                                   // 000000002AE8: 260000BF
	s_mov_b32 s2, s2                                           // 000000002AEC: BE820002
	s_mov_b32 s3, s3                                           // 000000002AF0: BE830003
	s_mov_b32 s4, s4                                           // 000000002AF4: BE840004
	v_readfirstlane_b32 s7, v3                                 // 000000002AF8: 7E0E0503
	s_waitcnt lgkmcnt(0)                                       // 000000002AFC: BF8CC07F
	s_and_b32 s49, s49, 0xffff                                 // 000000002B00: 8631FF31 0000FFFF
	s_load_dword s48, s[48:49], 0x0                            // 000000002B08: C0020C18 00000000
	s_and_b32 s45, s45, 0xffff                                 // 000000002B10: 862DFF2D 0000FFFF
	s_and_b32 s9, s9, 0xffff                                   // 000000002B18: 8609FF09 0000FFFF
	s_mul_i32 s60, s66, s68                                    // 000000002B20: 923C4442
	s_mul_i32 s61, s66, 4                                      // 000000002B24: 923D8442
	s_mov_b32 s22, s60                                         // 000000002B28: BE96003C
	s_mov_b32 s26, -16                                         // 000000002B2C: BE9A00D0
	s_mov_b32 s30, s61                                         // 000000002B30: BE9E003D
	s_mov_b32 s14, 0x80                                        // 000000002B34: BE8E00FF 00000080
	s_mov_b32 s38, -16                                         // 000000002B3C: BEA600D0
	s_mov_b32 s10, -16                                         // 000000002B40: BE8A00D0
	s_mov_b32 s34, 0x200                                       // 000000002B44: BEA200FF 00000200
	s_mov_b32 s23, 0x20000                                     // 000000002B4C: BE9700FF 00020000
	s_mov_b32 s27, 0x20000                                     // 000000002B54: BE9B00FF 00020000
	s_mov_b32 s31, 0x20000                                     // 000000002B5C: BE9F00FF 00020000
	s_mov_b32 s35, 0x20000                                     // 000000002B64: BEA300FF 00020000
	s_mov_b32 s15, 0x20000                                     // 000000002B6C: BE8F00FF 00020000
	s_mov_b32 s39, 0x20000                                     // 000000002B74: BEA700FF 00020000
	s_mov_b32 s11, 0x20000                                     // 000000002B7C: BE8B00FF 00020000
	s_and_b32 s21, s21, 0xffff                                 // 000000002B84: 8615FF15 0000FFFF
	s_and_b32 s25, s25, 0xffff                                 // 000000002B8C: 8619FF19 0000FFFF
	s_and_b32 s29, s29, 0xffff                                 // 000000002B94: 861DFF1D 0000FFFF
	s_and_b32 s33, s33, 0xffff                                 // 000000002B9C: 8621FF21 0000FFFF
	s_and_b32 s13, s13, 0xffff                                 // 000000002BA4: 860DFF0D 0000FFFF
	s_and_b32 s37, s37, 0xffff                                 // 000000002BAC: 8625FF25 0000FFFF
	s_or_b32 s21, s21, 0x40000                                 // 000000002BB4: 8715FF15 00040000
	s_or_b32 s25, s25, 0x40000                                 // 000000002BBC: 8719FF19 00040000
	s_or_b32 s29, s29, 0x40000                                 // 000000002BC4: 871DFF1D 00040000
	s_or_b32 s33, s33, 0x40000                                 // 000000002BCC: 8721FF21 00040000
	s_or_b32 s13, s13, 0x40000                                 // 000000002BD4: 870DFF0D 00040000
	s_or_b32 s37, s37, 0x40000                                 // 000000002BDC: 8725FF25 00040000
	s_mov_b32 s42, -16                                         // 000000002BE4: BEAA00D0
	s_mov_b32 s43, 0x20000                                     // 000000002BE8: BEAB00FF 00020000
	s_and_b32 s41, s41, 0xffff                                 // 000000002BF0: 8629FF29 0000FFFF
	s_or_b32 s41, s41, 0x40000                                 // 000000002BF8: 8729FF29 00040000
	v_accvgpr_write_b32 a63, 0                                 // 000000002C00: D3D9403F 18000080
	v_mov_b32_e32 v77, 0                                       // 000000002C08: 7E9A0280
	s_waitcnt lgkmcnt(0)                                       // 000000002C0C: BF8CC07F
	s_mul_i32 s60, s3, 32                                      // 000000002C10: 923CA003
	s_cmp_lt_i32 s60, s48                                      // 000000002C14: BF04303C
	s_cbranch_scc0 label_0DD3                                  // 000000002C18: BF840D49
	s_mov_b32 s80, 0                                           // 000000002C1C: BED00080
	s_lshr_b32 s81, s64, s88                                   // 000000002C20: 8F515840
	s_mul_i32 s60, s3, 4                                       // 000000002C24: 923C8403
	s_add_u32 s44, s60, s44                                    // 000000002C28: 802C2C3C
	s_addc_u32 s45, 0, s45                                     // 000000002C2C: 822D2D80
	s_load_dword s5, s[44:45], 0x0                             // 000000002C30: C0020156 00000000
	s_mul_i32 s60, s3, 32                                      // 000000002C38: 923CA003
	s_mul_i32 s60, 4, s60                                      // 000000002C3C: 923C3C84
	s_add_u32 s12, s60, s12                                    // 000000002C40: 800C0C3C
	s_addc_u32 s13, 0, s13                                     // 000000002C44: 820D0D80
	v_and_b32_e32 v4, 15, v0                                   // 000000002C48: 2608008F
	v_lshlrev_b32_e32 v4, 2, v4                                // 000000002C4C: 24080882
	buffer_load_dword v28, v4, s[12:15], 0 offen               // 000000002C50: E0501000 80031C04
	v_add_u32_e32 v4, 64, v4                                   // 000000002C58: 680808C0
	buffer_load_dword v29, v4, s[12:15], 0 offen               // 000000002C5C: E0501000 80031D04
	v_add_u32_e32 v4, 64, v4                                   // 000000002C64: 680808C0
	s_mul_i32 s60, 4, s7                                       // 000000002C68: 923C0784
	v_lshlrev_b32_e32 v4, 4, v0                                // 000000002C6C: 24080084
	v_add_u32_e32 v4, s60, v4                                  // 000000002C70: 6808083C
	buffer_load_dword v3, v4, s[12:15], 0 offen                // 000000002C74: E0501000 80030304
	v_mov_b32_e32 v44, 0                                       // 000000002C7C: 7E580280
	v_mov_b32_e32 v60, 0                                       // 000000002C80: 7E780280
	v_mov_b32_e32 v45, 0                                       // 000000002C84: 7E5A0280
	v_mov_b32_e32 v61, 0                                       // 000000002C88: 7E7A0280
	v_mov_b32_e32 v46, 0                                       // 000000002C8C: 7E5C0280
	v_mov_b32_e32 v62, 0                                       // 000000002C90: 7E7C0280
	v_mov_b32_e32 v47, 0                                       // 000000002C94: 7E5E0280
	v_mov_b32_e32 v63, 0                                       // 000000002C98: 7E7E0280
	v_mov_b32_e32 v48, 0                                       // 000000002C9C: 7E600280
	v_mov_b32_e32 v64, 0                                       // 000000002CA0: 7E800280
	v_mov_b32_e32 v49, 0                                       // 000000002CA4: 7E620280
	v_mov_b32_e32 v65, 0                                       // 000000002CA8: 7E820280
	v_mov_b32_e32 v50, 0                                       // 000000002CAC: 7E640280
	v_mov_b32_e32 v66, 0                                       // 000000002CB0: 7E840280
	v_mov_b32_e32 v51, 0                                       // 000000002CB4: 7E660280
	v_mov_b32_e32 v67, 0                                       // 000000002CB8: 7E860280
	v_mov_b32_e32 v52, 0                                       // 000000002CBC: 7E680280
	v_mov_b32_e32 v68, 0                                       // 000000002CC0: 7E880280
	v_mov_b32_e32 v53, 0                                       // 000000002CC4: 7E6A0280
	v_mov_b32_e32 v69, 0                                       // 000000002CC8: 7E8A0280
	v_mov_b32_e32 v54, 0                                       // 000000002CCC: 7E6C0280
	v_mov_b32_e32 v70, 0                                       // 000000002CD0: 7E8C0280
	v_mov_b32_e32 v55, 0                                       // 000000002CD4: 7E6E0280
	v_mov_b32_e32 v71, 0                                       // 000000002CD8: 7E8E0280
	v_mov_b32_e32 v56, 0                                       // 000000002CDC: 7E700280
	v_mov_b32_e32 v72, 0                                       // 000000002CE0: 7E900280
	v_mov_b32_e32 v57, 0                                       // 000000002CE4: 7E720280
	v_mov_b32_e32 v73, 0                                       // 000000002CE8: 7E920280
	v_mov_b32_e32 v58, 0                                       // 000000002CEC: 7E740280
	v_mov_b32_e32 v74, 0                                       // 000000002CF0: 7E940280
	v_mov_b32_e32 v59, 0                                       // 000000002CF4: 7E760280
	v_mov_b32_e32 v75, 0                                       // 000000002CF8: 7E960280
	s_mul_i32 s60, s2, 0x100                                   // 000000002CFC: 923CFF02 00000100
	s_cmp_eq_u32 s88, 0                                        // 000000002D04: BF068058
	s_cselect_b32 s61, 1, 2                                    // 000000002D08: 853D8281
	s_mul_i32 s60, s60, s61                                    // 000000002D0C: 923C3D3C
	s_mov_b32 s90, s8                                          // 000000002D10: BEDA0008
	s_mov_b32 s91, s9                                          // 000000002D14: BEDB0009
	s_add_u32 s8, s60, s8                                      // 000000002D18: 8008083C
	s_addc_u32 s9, 0, s9                                       // 000000002D1C: 82090980
	v_lshrrev_b32_e32 v4, 4, v0                                // 000000002D20: 20080084
	v_mul_lo_u32 v20, 34, v4                                   // 000000002D24: D2850014 000208A2
	v_and_b32_e32 v4, 15, v0                                   // 000000002D2C: 2608008F
	v_mul_lo_u32 v5, 2, v4                                     // 000000002D30: D2850005 00020882
	v_add_u32_e32 v20, v5, v20                                 // 000000002D38: 68282905
	s_mul_i32 s60, s7, 0x88                                    // 000000002D3C: 923CFF07 00000088
	v_add_u32_e32 v20, s60, v20                                // 000000002D44: 6828283C
	v_lshlrev_b32_e32 v20, 2, v20                              // 000000002D48: 24282882
	v_and_b32_e32 v4, 31, v0                                   // 000000002D4C: 2608009F
	v_lshrrev_b32_e32 v4, 1, v4                                // 000000002D50: 20080881
	v_mul_lo_u32 v21, 34, v4                                   // 000000002D54: D2850015 000208A2
	v_lshrrev_b32_e32 v4, 5, v0                                // 000000002D5C: 20080085
	v_mul_lo_u32 v4, 8, v4                                     // 000000002D60: D2850004 00020888
	v_add_u32_e32 v21, v21, v4                                 // 000000002D68: 682A0915
	v_and_b32_e32 v5, 1, v0                                    // 000000002D6C: 260A0081
	v_add_u32_e32 v21, v5, v21                                 // 000000002D70: 682A2B05
	s_mul_i32 s60, s7, 2                                       // 000000002D74: 923C8207
	v_add_u32_e32 v21, s60, v21                                // 000000002D78: 682A2A3C
	v_lshlrev_b32_e32 v21, 2, v21                              // 000000002D7C: 242A2A82
	s_mul_i32 s60, s7, 0x420                                   // 000000002D80: 923CFF07 00000420
	s_add_u32 s48, 0, s60                                      // 000000002D88: 80303C80
	s_add_u32 s49, 0x1080, s48                                 // 000000002D8C: 803130FF 00001080
	v_lshrrev_b32_e32 v4, 4, v0                                // 000000002D94: 20080084
	v_lshlrev_b32_e32 v5, 2, v4                                // 000000002D98: 240A0882
	v_and_b32_e32 v4, 15, v0                                   // 000000002D9C: 2608008F
	v_lshrrev_b32_e32 v6, 2, v4                                // 000000002DA0: 200C0882
	v_lshlrev_b32_e32 v6, 5, v6                                // 000000002DA4: 240C0C85
	v_add_u32_e32 v5, v6, v5                                   // 000000002DA8: 680A0B06
	v_and_b32_e32 v4, 3, v0                                    // 000000002DAC: 26080083
	v_mul_u32_u24_e32 v6, 0x108, v4                            // 000000002DB0: 100C08FF 00000108
	v_add_u32_e32 v5, v6, v5                                   // 000000002DB8: 680A0B06
	v_lshlrev_b32_e32 v2, 2, v5                                // 000000002DBC: 24040A82
	s_waitcnt lgkmcnt(0)                                       // 000000002DC0: BF8CC07F
	s_mul_i32 s60, s2, 0x80                                    // 000000002DC4: 923CFF02 00000080
	s_mul_i32 s60, s60, s69                                    // 000000002DCC: 923C453C
	s_mul_i32 s61, s5, s72                                     // 000000002DD0: 923D4805
	s_add_u32 s60, s61, s60                                    // 000000002DD4: 803C3C3D
	s_add_u32 s24, s60, s24                                    // 000000002DD8: 8018183C
	s_addc_u32 s25, 0, s25                                     // 000000002DDC: 82191980
	s_lshr_b32 s60, s64, s88                                   // 000000002DE0: 8F3C5840
	s_mul_i32 s60, s4, s60                                     // 000000002DE4: 923C3C04
	s_lshr_b32 s60, s60, 7                                     // 000000002DE8: 8F3C873C
	s_mul_i32 s60, s60, 0x800                                  // 000000002DEC: 923CFF3C 00000800
	s_add_u32 s24, s60, s24                                    // 000000002DF4: 8018183C
	s_addc_u32 s25, 0, s25                                     // 000000002DF8: 82191980
	s_lshr_b32 s60, s69, s88                                   // 000000002DFC: 8F3C5845
	s_mul_i32 s60, s4, s60                                     // 000000002E00: 923C3C04
	s_add_u32 s20, s60, s20                                    // 000000002E04: 8014143C
	s_addc_u32 s21, 0, s21                                     // 000000002E08: 82151580
	s_mul_i32 s60, s7, 16                                      // 000000002E0C: 923C9007
	s_mul_i32 s60, s60, s69                                    // 000000002E10: 923C453C
	v_lshlrev_b32_e32 v40, 4, v0                               // 000000002E14: 24500084
	v_add_u32_e32 v40, s60, v40                                // 000000002E18: 6850503C
	s_mul_i32 s60, 64, s69                                     // 000000002E1C: 923C45C0
	v_add_u32_e32 v41, s60, v40                                // 000000002E20: 6852503C
	s_mov_b32 s84, s24                                         // 000000002E24: BED40018
	s_mov_b32 s85, s25                                         // 000000002E28: BED50019
	s_mov_b32 s86, s26                                         // 000000002E2C: BED6001A
	s_mov_b32 s87, s27                                         // 000000002E30: BED7001B
	s_mul_i32 s60, s69, s65                                    // 000000002E34: 923C4145
	s_add_u32 s84, s60, s84                                    // 000000002E38: 8054543C
	s_addc_u32 s85, 0, s85                                     // 000000002E3C: 82555580
	v_lshrrev_b32_e32 v4, 4, v0                                // 000000002E40: 20080084
	v_lshlrev_b32_e32 v5, 2, v4                                // 000000002E44: 240A0882
	v_and_b32_e32 v4, 15, v0                                   // 000000002E48: 2608008F
	v_lshrrev_b32_e32 v6, 2, v4                                // 000000002E4C: 200C0882
	v_lshlrev_b32_e32 v6, 6, v6                                // 000000002E50: 240C0C86
	v_add_u32_e32 v5, v6, v5                                   // 000000002E54: 680A0B06
	v_and_b32_e32 v4, 3, v0                                    // 000000002E58: 26080083
	v_add_u32_e32 v5, v4, v5                                   // 000000002E5C: 680A0B04
	v_lshlrev_b32_e32 v22, 2, v5                               // 000000002E60: 242C0A82
	s_mul_i32 s60, s7, 16                                      // 000000002E64: 923C9007
	s_mul_i32 s60, s60, 4                                      // 000000002E68: 923C843C
	v_add_u32_e32 v22, s60, v22                                // 000000002E6C: 682C2C3C
	s_mul_i32 s60, s2, 0x80                                    // 000000002E70: 923CFF02 00000080
	s_mul_i32 s60, s60, 4                                      // 000000002E78: 923C843C
	s_mul_i32 s61, s5, s74                                     // 000000002E7C: 923D4A05
	s_add_u32 s61, s61, s60                                    // 000000002E80: 803D3C3D
	s_add_u32 s32, s61, s32                                    // 000000002E84: 8020203D
	s_addc_u32 s33, 0, s33                                     // 000000002E88: 82212180
	s_mov_b32 s57, 0x80                                        // 000000002E8C: BEB900FF 00000080
	s_mov_b32 s58, 0x800                                       // 000000002E94: BEBA00FF 00000800
	s_mov_b32 s83, s58                                         // 000000002E9C: BED3003A
	s_mov_b32 s52, 0x7060302                                   // 000000002EA0: BEB400FF 07060302
	s_mov_b32 s53, 0x400                                       // 000000002EA8: BEB500FF 00000400
	s_mov_b32 s54, 0x40100                                     // 000000002EB0: BEB600FF 00040100
	s_mov_b32 s55, 0x4020100                                   // 000000002EB8: BEB700FF 04020100
	s_mov_b32 s6, 0x3fb8aa3b                                   // 000000002EC0: BE8600FF 3FB8AA3B
	s_mov_b32 s78, 0xbd92220c                                  // 000000002EC8: BECE00FF BD92220C
	s_mov_b32 s79, 0xbd92220c                                  // 000000002ED0: BECF00FF BD92220C
	s_mov_b32 m0, s48                                          // 000000002ED8: BEFC0030
	v_mov_b32_e32 v1, 0xbfcc4231                               // 000000002EDC: 7E0202FF BFCC4231
	v_mov_b32_e32 v17, 0xffff0000                              // 000000002EE4: 7E2202FF FFFF0000
	v_mov_b32_e32 v18, 0x7fff0000                              // 000000002EEC: 7E2402FF 7FFF0000
	v_mov_b32_e32 v19, 0x7fff                                  // 000000002EF4: 7E2602FF 00007FFF
	s_waitcnt vmcnt(0) expcnt(0) lgkmcnt(0)                    // 000000002EFC: BF8C0000
	s_mul_i32 s60, s3, 32                                      // 000000002F00: 923CA003
	s_mul_i32 s60, 4, s60                                      // 000000002F04: 923C3C84
	s_add_u32 s40, s60, s40                                    // 000000002F08: 8028283C
	s_addc_u32 s41, 0, s41                                     // 000000002F0C: 82292980
	v_and_b32_e32 v4, 15, v0                                   // 000000002F10: 2608008F
	v_lshlrev_b32_e32 v4, 2, v4                                // 000000002F14: 24080882
	buffer_load_dword v76, v4, s[40:43], 0 offen               // 000000002F18: E0501000 800A4C04
	buffer_load_dword v77, v4, s[40:43], 0 offen offset:64     // 000000002F20: E0501040 800A4D04
	v_lshrrev_b32_e32 v4, 5, v0                                // 000000002F28: 20080085
	v_xor_b32_e32 v5, 1, v4                                    // 000000002F2C: 2A0A0881
	v_readlane_b32 s82, v3, 0                                  // 000000002F30: D2890052 00010103
	s_and_b32 s82, s82, 0xffffff                               // 000000002F38: 8652FF52 00FFFFFF
	v_mul_lo_u32 v6, v5, s82                                   // 000000002F40: D2850006 0000A505
	v_readlane_b32 s82, v3, 1                                  // 000000002F48: D2890052 00010303
	s_and_b32 s82, s82, 0xffffff                               // 000000002F50: 8652FF52 00FFFFFF
	v_mul_lo_u32 v7, v4, s82                                   // 000000002F58: D2850007 0000A504
	v_add_u32_e32 v36, v6, v7                                  // 000000002F60: 68480F06
	v_mul_lo_u32 v36, v36, s68                                 // 000000002F64: D2850024 00008924
	v_readlane_b32 s82, v3, 2                                  // 000000002F6C: D2890052 00010503
	s_and_b32 s82, s82, 0xffffff                               // 000000002F74: 8652FF52 00FFFFFF
	v_mul_lo_u32 v6, v5, s82                                   // 000000002F7C: D2850006 0000A505
	v_readlane_b32 s82, v3, 3                                  // 000000002F84: D2890052 00010703
	s_and_b32 s82, s82, 0xffffff                               // 000000002F8C: 8652FF52 00FFFFFF
	v_mul_lo_u32 v7, v4, s82                                   // 000000002F94: D2850007 0000A504
	v_add_u32_e32 v37, v6, v7                                  // 000000002F9C: 684A0F06
	v_mul_lo_u32 v37, v37, s68                                 // 000000002FA0: D2850025 00008925
	v_readlane_b32 s82, v3, 4                                  // 000000002FA8: D2890052 00010903
	s_and_b32 s82, s82, 0xffffff                               // 000000002FB0: 8652FF52 00FFFFFF
	v_mul_lo_u32 v6, v5, s82                                   // 000000002FB8: D2850006 0000A505
	v_readlane_b32 s82, v3, 5                                  // 000000002FC0: D2890052 00010B03
	s_and_b32 s82, s82, 0xffffff                               // 000000002FC8: 8652FF52 00FFFFFF
	v_mul_lo_u32 v7, v4, s82                                   // 000000002FD0: D2850007 0000A504
	v_add_u32_e32 v38, v6, v7                                  // 000000002FD8: 684C0F06
	v_mul_lo_u32 v38, v38, s68                                 // 000000002FDC: D2850026 00008926
	v_readlane_b32 s82, v3, 6                                  // 000000002FE4: D2890052 00010D03
	s_and_b32 s82, s82, 0xffffff                               // 000000002FEC: 8652FF52 00FFFFFF
	v_mul_lo_u32 v6, v5, s82                                   // 000000002FF4: D2850006 0000A505
	v_readlane_b32 s82, v3, 7                                  // 000000002FFC: D2890052 00010F03
	s_and_b32 s82, s82, 0xffffff                               // 000000003004: 8652FF52 00FFFFFF
	v_mul_lo_u32 v7, v4, s82                                   // 00000000300C: D2850007 0000A504
	v_add_u32_e32 v39, v6, v7                                  // 000000003014: 684E0F06
	v_mul_lo_u32 v39, v39, s68                                 // 000000003018: D2850027 00008927
	v_and_b32_e32 v4, 31, v0                                   // 000000003020: 2608009F
	v_lshlrev_b32_e32 v4, 2, v4                                // 000000003024: 24080882
	v_add_u32_e32 v36, v36, v4                                 // 000000003028: 68480924
	v_add_u32_e32 v37, v37, v4                                 // 00000000302C: 684A0925
	v_add_u32_e32 v38, v38, v4                                 // 000000003030: 684C0926
	v_add_u32_e32 v39, v39, v4                                 // 000000003034: 684E0927
	v_and_b32_e32 v28, 0xffffff, v28                           // 000000003038: 263838FF 00FFFFFF
	v_lshlrev_b32_e32 v28, 2, v28                              // 000000003040: 24383882
	v_and_b32_e32 v29, 0xffffff, v29                           // 000000003044: 263A3AFF 00FFFFFF
	v_lshlrev_b32_e32 v29, 2, v29                              // 00000000304C: 243A3A82
	s_lshl_b32 s3, s66, 2                                      // 000000003050: 8E038242
	buffer_load_dword v30, v28, s[28:31], 0 offen              // 000000003054: E0501000 80071E1C
	buffer_load_dword v31, v29, s[28:31], 0 offen              // 00000000305C: E0501000 80071F1D
	buffer_load_dword v24, v22, s[32:35], 0 offen              // 000000003064: E0501000 80081816
	s_mul_i32 s60, 4, s65                                      // 00000000306C: 923C4184
	s_add_u32 s32, s60, s32                                    // 000000003070: 8020203C
	s_addc_u32 s33, 0, s33                                     // 000000003074: 82212180
	buffer_load_dword v26, v22, s[32:35], 0 offen              // 000000003078: E0501000 80081A16
	buffer_load_dword v36, s[20:23], 0 offen lds               // 000000003080: E0511000 80050024
	s_add_u32 m0, 0x100, s48                                   // 000000003088: 807C30FF 00000100
	buffer_load_dword v37, s[20:23], 0 offen lds               // 000000003090: E0511000 80050025
	s_add_u32 m0, 0x200, s48                                   // 000000003098: 807C30FF 00000200
	buffer_load_dword v38, s[20:23], 0 offen lds               // 0000000030A0: E0511000 80050026
	s_add_u32 m0, 0x300, s48                                   // 0000000030A8: 807C30FF 00000300
	buffer_load_dword v39, s[20:23], 0 offen lds               // 0000000030B0: E0511000 80050027
	s_add_u32 m0, 0, s49                                       // 0000000030B8: 807C3180
	s_add_u32 s20, s57, s20                                    // 0000000030BC: 80141439
	s_addc_u32 s21, 0, s21                                     // 0000000030C0: 82151580
	buffer_load_dword v36, s[20:23], 0 offen lds               // 0000000030C4: E0511000 80050024
	s_add_u32 m0, 0x100, s49                                   // 0000000030CC: 807C31FF 00000100
	buffer_load_dword v37, s[20:23], 0 offen lds               // 0000000030D4: E0511000 80050025
	s_add_u32 m0, 0x200, s49                                   // 0000000030DC: 807C31FF 00000200
	buffer_load_dword v38, s[20:23], 0 offen lds               // 0000000030E4: E0511000 80050026
	s_add_u32 m0, 0x300, s49                                   // 0000000030EC: 807C31FF 00000300
	buffer_load_dword v39, s[20:23], 0 offen lds               // 0000000030F4: E0511000 80050027
	s_add_u32 m0, 0, s48                                       // 0000000030FC: 807C3080
	s_add_u32 s20, s57, s20                                    // 000000003100: 80141439
	s_addc_u32 s21, 0, s21                                     // 000000003104: 82151580
	buffer_load_dwordx4 a[32:35], v40, s[24:27], 0 offen       // 000000003108: E05C1000 80862028
	buffer_load_dwordx4 a[36:39], v40, s[24:27], 0 offen offset:1024// 000000003110: E05C1400 80862428
	buffer_load_dwordx4 a[40:43], v41, s[24:27], 0 offen       // 000000003118: E05C1000 80862829
	buffer_load_dwordx4 a[44:47], v41, s[24:27], 0 offen offset:1024// 000000003120: E05C1400 80862C29
	s_add_u32 s24, s58, s24                                    // 000000003128: 8018183A
	s_addc_u32 s25, 0, s25                                     // 00000000312C: 82191980
	s_waitcnt vmcnt(8)                                         // 000000003130: BF8C0F78
	s_barrier                                                  // 000000003134: BF8A0000
	ds_read_b128 a[0:3], v2                                    // 000000003138: DBFE0000 00000002
	ds_read_b128 a[4:7], v2 offset:64                          // 000000003140: DBFE0040 04000002
	ds_read_b128 a[8:11], v2 offset:512                        // 000000003148: DBFE0200 08000002
	ds_read_b128 a[12:15], v2 offset:576                       // 000000003150: DBFE0240 0C000002
	s_cmp_lt_i32 s7, 2                                         // 000000003158: BF048207
	s_cbranch_scc0 label_07D7                                  // 00000000315C: BF8405FC

0000000000003160 <label_01D8>:
	s_waitcnt vmcnt(2) lgkmcnt(0)                              // 000000003160: BF8C0072
	s_barrier                                                  // 000000003164: BF8A0000
	v_mfma_f32_16x16x32_fp8_fp8 v[44:47], a[32:33], a[0:1], v[44:47]// 000000003168: D3F3002C 1CB20120
	v_mfma_f32_16x16x32_fp8_fp8 v[44:47], a[34:35], a[2:3], v[44:47]// 000000003170: D3F3002C 1CB20522
	buffer_load_dwordx4 a[48:51], v40, s[84:87], 0 offen       // 000000003178: E05C1000 80953028
	v_mfma_f32_16x16x32_fp8_fp8 v[44:47], a[36:37], a[4:5], v[44:47]// 000000003180: D3F3002C 1CB20924
	v_mfma_f32_16x16x32_fp8_fp8 v[44:47], a[38:39], a[6:7], v[44:47]// 000000003188: D3F3002C 1CB20D26
	v_mfma_f32_16x16x32_fp8_fp8 v[48:51], a[32:33], a[8:9], v[48:51]// 000000003190: D3F30030 1CC21120
	v_mfma_f32_16x16x32_fp8_fp8 v[48:51], a[34:35], a[10:11], v[48:51]// 000000003198: D3F30030 1CC21522
	buffer_load_dwordx4 a[52:55], v40, s[84:87], 0 offen offset:1024// 0000000031A0: E05C1400 80953428
	v_mfma_f32_16x16x32_fp8_fp8 v[48:51], a[36:37], a[12:13], v[48:51]// 0000000031A8: D3F30030 1CC21924
	v_mfma_f32_16x16x32_fp8_fp8 v[48:51], a[38:39], a[14:15], v[48:51]// 0000000031B0: D3F30030 1CC21D26
	s_waitcnt vmcnt(2)                                         // 0000000031B8: BF8C0F72
	v_mfma_f32_16x16x32_fp8_fp8 v[52:55], a[40:41], a[0:1], v[52:55]// 0000000031BC: D3F30034 1CD20128
	v_mfma_f32_16x16x32_fp8_fp8 v[52:55], a[42:43], a[2:3], v[52:55]// 0000000031C4: D3F30034 1CD2052A
	buffer_load_dwordx4 a[56:59], v41, s[84:87], 0 offen       // 0000000031CC: E05C1000 80953829
	v_mfma_f32_16x16x32_fp8_fp8 v[52:55], a[44:45], a[4:5], v[52:55]// 0000000031D4: D3F30034 1CD2092C
	v_mfma_f32_16x16x32_fp8_fp8 v[52:55], a[46:47], a[6:7], v[52:55]// 0000000031DC: D3F30034 1CD20D2E
	v_mfma_f32_16x16x32_fp8_fp8 v[56:59], a[40:41], a[8:9], v[56:59]// 0000000031E4: D3F30038 1CE21128
	v_mfma_f32_16x16x32_fp8_fp8 v[56:59], a[42:43], a[10:11], v[56:59]// 0000000031EC: D3F30038 1CE2152A
	buffer_load_dwordx4 a[60:63], v41, s[84:87], 0 offen offset:1024// 0000000031F4: E05C1400 80953C29
	buffer_load_dword v36, s[20:23], 0 offen lds               // 0000000031FC: E0511000 80050024
	s_add_u32 m0, 0x100, s48                                   // 000000003204: 807C30FF 00000100
	s_add_u32 s60, 0x80, s80                                   // 00000000320C: 803C50FF 00000080
	s_cmp_lt_u32 s60, s81                                      // 000000003214: BF0A513C
	s_cselect_b32 s83, s83, 0                                  // 000000003218: 85538053
	v_mfma_f32_16x16x32_fp8_fp8 v[56:59], a[44:45], a[12:13], v[56:59]// 00000000321C: D3F30038 1CE2192C
	v_mfma_f32_16x16x32_fp8_fp8 v[56:59], a[46:47], a[14:15], v[56:59]// 000000003224: D3F30038 1CE21D2E
	buffer_load_dword v37, s[20:23], 0 offen lds               // 00000000322C: E0511000 80050025
	s_add_u32 m0, 0x200, s48                                   // 000000003234: 807C30FF 00000200
	buffer_load_dword v38, s[20:23], 0 offen lds               // 00000000323C: E0511000 80050026
	s_add_u32 m0, 0x300, s48                                   // 000000003244: 807C30FF 00000300
	buffer_load_dword v39, s[20:23], 0 offen lds               // 00000000324C: E0511000 80050027
	s_add_u32 m0, 0, s49                                       // 000000003254: 807C3180
	s_waitcnt vmcnt(4)                                         // 000000003258: BF8C0F74
	v_mfma_f32_16x16x32_fp8_fp8 v[60:63], a[48:49], a[0:1], v[60:63]// 00000000325C: D3F3003C 1CF20130
	v_mfma_f32_16x16x32_fp8_fp8 v[60:63], a[50:51], a[2:3], v[60:63]// 000000003264: D3F3003C 1CF20532
	buffer_load_dwordx4 a[32:35], v40, s[24:27], 0 offen       // 00000000326C: E05C1000 80862028
	v_mfma_f32_16x16x32_fp8_fp8 v[60:63], a[52:53], a[4:5], v[60:63]// 000000003274: D3F3003C 1CF20934
	v_mfma_f32_16x16x32_fp8_fp8 v[60:63], a[54:55], a[6:7], v[60:63]// 00000000327C: D3F3003C 1CF20D36
	ds_read_b128 a[16:19], v2 offset:4224                      // 000000003284: DBFE1080 10000002
	ds_read_b128 a[20:23], v2 offset:4288                      // 00000000328C: DBFE10C0 14000002
	v_mfma_f32_16x16x32_fp8_fp8 v[68:71], a[56:57], a[0:1], v[68:71]// 000000003294: D3F30044 1D120138
	v_mfma_f32_16x16x32_fp8_fp8 v[68:71], a[58:59], a[2:3], v[68:71]// 00000000329C: D3F30044 1D12053A
	buffer_load_dwordx4 a[36:39], v40, s[24:27], 0 offen offset:1024// 0000000032A4: E05C1400 80862428
	v_mfma_f32_16x16x32_fp8_fp8 v[68:71], a[60:61], a[4:5], v[68:71]// 0000000032AC: D3F30044 1D12093C
	v_mfma_f32_16x16x32_fp8_fp8 v[68:71], a[62:63], a[6:7], v[68:71]// 0000000032B4: D3F30044 1D120D3E
	ds_read_b128 a[24:27], v2 offset:4736                      // 0000000032BC: DBFE1280 18000002
	ds_read_b128 a[28:31], v2 offset:4800                      // 0000000032C4: DBFE12C0 1C000002
	v_mfma_f32_16x16x32_fp8_fp8 v[64:67], a[48:49], a[8:9], v[64:67]// 0000000032CC: D3F30040 1D021130
	v_mfma_f32_16x16x32_fp8_fp8 v[64:67], a[50:51], a[10:11], v[64:67]// 0000000032D4: D3F30040 1D021532
	buffer_load_dwordx4 a[40:43], v41, s[24:27], 0 offen       // 0000000032DC: E05C1000 80862829
	v_mfma_f32_16x16x32_fp8_fp8 v[64:67], a[52:53], a[12:13], v[64:67]// 0000000032E4: D3F30040 1D021934
	s_add_u32 s60, 0x180, s80                                  // 0000000032EC: 803C50FF 00000180
	s_cmp_lt_u32 s60, s81                                      // 0000000032F4: BF0A513C
	s_cselect_b32 s57, s57, 0                                  // 0000000032F8: 85398039
	v_mfma_f32_16x16x32_fp8_fp8 v[64:67], a[54:55], a[14:15], v[64:67]// 0000000032FC: D3F30040 1D021D36
	s_add_u32 s60, 0x100, s80                                  // 000000003304: 803C50FF 00000100
	s_cmp_lt_u32 s60, s81                                      // 00000000330C: BF0A513C
	s_cselect_b32 s58, s58, 0                                  // 000000003310: 853A803A
	v_mfma_f32_16x16x32_fp8_fp8 v[72:75], a[56:57], a[8:9], v[72:75]// 000000003314: D3F30048 1D221138
	v_mfma_f32_16x16x32_fp8_fp8 v[72:75], a[58:59], a[10:11], v[72:75]// 00000000331C: D3F30048 1D22153A
	buffer_load_dwordx4 a[44:47], v41, s[24:27], 0 offen offset:1024// 000000003324: E05C1400 80862C29
	s_add_u32 s20, s57, s20                                    // 00000000332C: 80141439
	s_addc_u32 s21, 0, s21                                     // 000000003330: 82151580
	v_mfma_f32_16x16x32_fp8_fp8 v[72:75], a[60:61], a[12:13], v[72:75]// 000000003334: D3F30048 1D22193C
	s_add_u32 s84, s83, s84                                    // 00000000333C: 80545453
	s_addc_u32 s85, 0, s85                                     // 000000003340: 82555580
	v_mfma_f32_16x16x32_fp8_fp8 v[72:75], a[62:63], a[14:15], v[72:75]// 000000003344: D3F30048 1D221D3E
	s_add_u32 s24, s58, s24                                    // 00000000334C: 8018183A
	s_addc_u32 s25, 0, s25                                     // 000000003350: 82191980
	s_addk_i32 s80, 0x80                                       // 000000003354: B7500080
	s_cmp_lt_i32 s80, s81                                      // 000000003358: BF045150
	s_cbranch_scc0 label_02D9                                  // 00000000335C: BF840081
	s_waitcnt vmcnt(2) lgkmcnt(0)                              // 000000003360: BF8C0072
	s_barrier                                                  // 000000003364: BF8A0000
	v_mfma_f32_16x16x32_fp8_fp8 v[44:47], a[32:33], a[16:17], v[44:47]// 000000003368: D3F3002C 1CB22120
	v_mfma_f32_16x16x32_fp8_fp8 v[44:47], a[34:35], a[18:19], v[44:47]// 000000003370: D3F3002C 1CB22522
	buffer_load_dwordx4 a[48:51], v40, s[84:87], 0 offen       // 000000003378: E05C1000 80953028
	v_mfma_f32_16x16x32_fp8_fp8 v[44:47], a[36:37], a[20:21], v[44:47]// 000000003380: D3F3002C 1CB22924
	v_mfma_f32_16x16x32_fp8_fp8 v[44:47], a[38:39], a[22:23], v[44:47]// 000000003388: D3F3002C 1CB22D26
	v_mfma_f32_16x16x32_fp8_fp8 v[48:51], a[32:33], a[24:25], v[48:51]// 000000003390: D3F30030 1CC23120
	v_mfma_f32_16x16x32_fp8_fp8 v[48:51], a[34:35], a[26:27], v[48:51]// 000000003398: D3F30030 1CC23522
	buffer_load_dwordx4 a[52:55], v40, s[84:87], 0 offen offset:1024// 0000000033A0: E05C1400 80953428
	v_mfma_f32_16x16x32_fp8_fp8 v[48:51], a[36:37], a[28:29], v[48:51]// 0000000033A8: D3F30030 1CC23924
	v_mfma_f32_16x16x32_fp8_fp8 v[48:51], a[38:39], a[30:31], v[48:51]// 0000000033B0: D3F30030 1CC23D26
	s_waitcnt vmcnt(2)                                         // 0000000033B8: BF8C0F72
	v_mfma_f32_16x16x32_fp8_fp8 v[52:55], a[40:41], a[16:17], v[52:55]// 0000000033BC: D3F30034 1CD22128
	v_mfma_f32_16x16x32_fp8_fp8 v[52:55], a[42:43], a[18:19], v[52:55]// 0000000033C4: D3F30034 1CD2252A
	buffer_load_dwordx4 a[56:59], v41, s[84:87], 0 offen       // 0000000033CC: E05C1000 80953829
	v_mfma_f32_16x16x32_fp8_fp8 v[52:55], a[44:45], a[20:21], v[52:55]// 0000000033D4: D3F30034 1CD2292C
	v_mfma_f32_16x16x32_fp8_fp8 v[52:55], a[46:47], a[22:23], v[52:55]// 0000000033DC: D3F30034 1CD22D2E
	v_mfma_f32_16x16x32_fp8_fp8 v[56:59], a[40:41], a[24:25], v[56:59]// 0000000033E4: D3F30038 1CE23128
	v_mfma_f32_16x16x32_fp8_fp8 v[56:59], a[42:43], a[26:27], v[56:59]// 0000000033EC: D3F30038 1CE2352A
	buffer_load_dwordx4 a[60:63], v41, s[84:87], 0 offen offset:1024// 0000000033F4: E05C1400 80953C29
	buffer_load_dword v36, s[20:23], 0 offen lds               // 0000000033FC: E0511000 80050024
	s_add_u32 m0, 0x100, s49                                   // 000000003404: 807C31FF 00000100
	s_add_u32 s60, 0x80, s80                                   // 00000000340C: 803C50FF 00000080
	s_cmp_lt_u32 s60, s81                                      // 000000003414: BF0A513C
	s_cselect_b32 s83, s83, 0                                  // 000000003418: 85538053
	v_mfma_f32_16x16x32_fp8_fp8 v[56:59], a[44:45], a[28:29], v[56:59]// 00000000341C: D3F30038 1CE2392C
	v_mfma_f32_16x16x32_fp8_fp8 v[56:59], a[46:47], a[30:31], v[56:59]// 000000003424: D3F30038 1CE23D2E
	buffer_load_dword v37, s[20:23], 0 offen lds               // 00000000342C: E0511000 80050025
	s_add_u32 m0, 0x200, s49                                   // 000000003434: 807C31FF 00000200
	buffer_load_dword v38, s[20:23], 0 offen lds               // 00000000343C: E0511000 80050026
	s_add_u32 m0, 0x300, s49                                   // 000000003444: 807C31FF 00000300
	buffer_load_dword v39, s[20:23], 0 offen lds               // 00000000344C: E0511000 80050027
	s_add_u32 m0, 0, s48                                       // 000000003454: 807C3080
	s_waitcnt vmcnt(4)                                         // 000000003458: BF8C0F74
	v_mfma_f32_16x16x32_fp8_fp8 v[60:63], a[48:49], a[16:17], v[60:63]// 00000000345C: D3F3003C 1CF22130
	v_mfma_f32_16x16x32_fp8_fp8 v[60:63], a[50:51], a[18:19], v[60:63]// 000000003464: D3F3003C 1CF22532
	buffer_load_dwordx4 a[32:35], v40, s[24:27], 0 offen       // 00000000346C: E05C1000 80862028
	v_mfma_f32_16x16x32_fp8_fp8 v[60:63], a[52:53], a[20:21], v[60:63]// 000000003474: D3F3003C 1CF22934
	v_mfma_f32_16x16x32_fp8_fp8 v[60:63], a[54:55], a[22:23], v[60:63]// 00000000347C: D3F3003C 1CF22D36
	ds_read_b128 a[0:3], v2                                    // 000000003484: DBFE0000 00000002
	ds_read_b128 a[4:7], v2 offset:64                          // 00000000348C: DBFE0040 04000002
	v_mfma_f32_16x16x32_fp8_fp8 v[68:71], a[56:57], a[16:17], v[68:71]// 000000003494: D3F30044 1D122138
	v_mfma_f32_16x16x32_fp8_fp8 v[68:71], a[58:59], a[18:19], v[68:71]// 00000000349C: D3F30044 1D12253A
	buffer_load_dwordx4 a[36:39], v40, s[24:27], 0 offen offset:1024// 0000000034A4: E05C1400 80862428
	v_mfma_f32_16x16x32_fp8_fp8 v[68:71], a[60:61], a[20:21], v[68:71]// 0000000034AC: D3F30044 1D12293C
	v_mfma_f32_16x16x32_fp8_fp8 v[68:71], a[62:63], a[22:23], v[68:71]// 0000000034B4: D3F30044 1D122D3E
	ds_read_b128 a[8:11], v2 offset:512                        // 0000000034BC: DBFE0200 08000002
	ds_read_b128 a[12:15], v2 offset:576                       // 0000000034C4: DBFE0240 0C000002
	v_mfma_f32_16x16x32_fp8_fp8 v[64:67], a[48:49], a[24:25], v[64:67]// 0000000034CC: D3F30040 1D023130
	v_mfma_f32_16x16x32_fp8_fp8 v[64:67], a[50:51], a[26:27], v[64:67]// 0000000034D4: D3F30040 1D023532
	buffer_load_dwordx4 a[40:43], v41, s[24:27], 0 offen       // 0000000034DC: E05C1000 80862829
	v_mfma_f32_16x16x32_fp8_fp8 v[64:67], a[52:53], a[28:29], v[64:67]// 0000000034E4: D3F30040 1D023934
	s_add_u32 s60, 0x180, s80                                  // 0000000034EC: 803C50FF 00000180
	s_cmp_lt_u32 s60, s81                                      // 0000000034F4: BF0A513C
	s_cselect_b32 s57, s57, 0                                  // 0000000034F8: 85398039
	v_mfma_f32_16x16x32_fp8_fp8 v[64:67], a[54:55], a[30:31], v[64:67]// 0000000034FC: D3F30040 1D023D36
	s_add_u32 s60, 0x100, s80                                  // 000000003504: 803C50FF 00000100
	s_cmp_lt_u32 s60, s81                                      // 00000000350C: BF0A513C
	s_cselect_b32 s58, s58, 0                                  // 000000003510: 853A803A
	v_mfma_f32_16x16x32_fp8_fp8 v[72:75], a[56:57], a[24:25], v[72:75]// 000000003514: D3F30048 1D223138
	v_mfma_f32_16x16x32_fp8_fp8 v[72:75], a[58:59], a[26:27], v[72:75]// 00000000351C: D3F30048 1D22353A
	buffer_load_dwordx4 a[44:47], v41, s[24:27], 0 offen offset:1024// 000000003524: E05C1400 80862C29
	s_add_u32 s20, s57, s20                                    // 00000000352C: 80141439
	s_addc_u32 s21, 0, s21                                     // 000000003530: 82151580
	v_mfma_f32_16x16x32_fp8_fp8 v[72:75], a[60:61], a[28:29], v[72:75]// 000000003534: D3F30048 1D22393C
	s_add_u32 s84, s83, s84                                    // 00000000353C: 80545453
	s_addc_u32 s85, 0, s85                                     // 000000003540: 82555580
	v_mfma_f32_16x16x32_fp8_fp8 v[72:75], a[62:63], a[30:31], v[72:75]// 000000003544: D3F30048 1D223D3E
	s_add_u32 s24, s58, s24                                    // 00000000354C: 8018183A
	s_addc_u32 s25, 0, s25                                     // 000000003550: 82191980
	s_addk_i32 s80, 0x80                                       // 000000003554: B7500080
	s_cmp_lt_i32 s80, s81                                      // 000000003558: BF045150
	s_cbranch_scc0 label_02D9                                  // 00000000355C: BF840001
	s_branch label_01D8                                        // 000000003560: BF82FEFF

0000000000003564 <label_02D9>:
	v_mul_f32_dpp v44, v24, v44 row_newbcast:0 row_mask:0xf bank_mask:0xf// 000000003564: 0A5858FA FF015018
	v_mul_f32_dpp v45, v24, v45 row_newbcast:1 row_mask:0xf bank_mask:0xf// 00000000356C: 0A5A5AFA FF015118
	v_mul_f32_dpp v46, v24, v46 row_newbcast:2 row_mask:0xf bank_mask:0xf// 000000003574: 0A5C5CFA FF015218
	v_mul_f32_dpp v47, v24, v47 row_newbcast:3 row_mask:0xf bank_mask:0xf// 00000000357C: 0A5E5EFA FF015318
	v_mul_f32_dpp v48, v24, v48 row_newbcast:0 row_mask:0xf bank_mask:0xf// 000000003584: 0A6060FA FF015018
	v_mul_f32_dpp v49, v24, v49 row_newbcast:1 row_mask:0xf bank_mask:0xf// 00000000358C: 0A6262FA FF015118
	v_mul_f32_dpp v50, v24, v50 row_newbcast:2 row_mask:0xf bank_mask:0xf// 000000003594: 0A6464FA FF015218
	v_mul_f32_dpp v51, v24, v51 row_newbcast:3 row_mask:0xf bank_mask:0xf// 00000000359C: 0A6666FA FF015318
	v_mul_f32_dpp v52, v24, v52 row_newbcast:4 row_mask:0xf bank_mask:0xf// 0000000035A4: 0A6868FA FF015418
	v_mul_f32_dpp v53, v24, v53 row_newbcast:5 row_mask:0xf bank_mask:0xf// 0000000035AC: 0A6A6AFA FF015518
	v_mul_f32_dpp v54, v24, v54 row_newbcast:6 row_mask:0xf bank_mask:0xf// 0000000035B4: 0A6C6CFA FF015618
	v_mul_f32_dpp v55, v24, v55 row_newbcast:7 row_mask:0xf bank_mask:0xf// 0000000035BC: 0A6E6EFA FF015718
	v_mul_f32_dpp v56, v24, v56 row_newbcast:4 row_mask:0xf bank_mask:0xf// 0000000035C4: 0A7070FA FF015418
	v_mul_f32_dpp v57, v24, v57 row_newbcast:5 row_mask:0xf bank_mask:0xf// 0000000035CC: 0A7272FA FF015518
	v_mul_f32_dpp v58, v24, v58 row_newbcast:6 row_mask:0xf bank_mask:0xf// 0000000035D4: 0A7474FA FF015618
	v_mul_f32_dpp v59, v24, v59 row_newbcast:7 row_mask:0xf bank_mask:0xf// 0000000035DC: 0A7676FA FF015718
	v_mul_f32_dpp v60, v26, v60 row_newbcast:0 row_mask:0xf bank_mask:0xf// 0000000035E4: 0A7878FA FF01501A
	v_mul_f32_dpp v61, v26, v61 row_newbcast:1 row_mask:0xf bank_mask:0xf// 0000000035EC: 0A7A7AFA FF01511A
	v_mul_f32_dpp v62, v26, v62 row_newbcast:2 row_mask:0xf bank_mask:0xf// 0000000035F4: 0A7C7CFA FF01521A
	v_mul_f32_dpp v63, v26, v63 row_newbcast:3 row_mask:0xf bank_mask:0xf// 0000000035FC: 0A7E7EFA FF01531A
	v_mul_f32_dpp v64, v26, v64 row_newbcast:0 row_mask:0xf bank_mask:0xf// 000000003604: 0A8080FA FF01501A
	v_mul_f32_dpp v65, v26, v65 row_newbcast:1 row_mask:0xf bank_mask:0xf// 00000000360C: 0A8282FA FF01511A
	v_mul_f32_dpp v66, v26, v66 row_newbcast:2 row_mask:0xf bank_mask:0xf// 000000003614: 0A8484FA FF01521A
	v_mul_f32_dpp v67, v26, v67 row_newbcast:3 row_mask:0xf bank_mask:0xf// 00000000361C: 0A8686FA FF01531A
	v_mul_f32_dpp v68, v26, v68 row_newbcast:4 row_mask:0xf bank_mask:0xf// 000000003624: 0A8888FA FF01541A
	v_mul_f32_dpp v69, v26, v69 row_newbcast:5 row_mask:0xf bank_mask:0xf// 00000000362C: 0A8A8AFA FF01551A
	v_mul_f32_dpp v70, v26, v70 row_newbcast:6 row_mask:0xf bank_mask:0xf// 000000003634: 0A8C8CFA FF01561A
	v_mul_f32_dpp v71, v26, v71 row_newbcast:7 row_mask:0xf bank_mask:0xf// 00000000363C: 0A8E8EFA FF01571A
	v_mul_f32_dpp v72, v26, v72 row_newbcast:4 row_mask:0xf bank_mask:0xf// 000000003644: 0A9090FA FF01541A
	v_mul_f32_dpp v73, v26, v73 row_newbcast:5 row_mask:0xf bank_mask:0xf// 00000000364C: 0A9292FA FF01551A
	v_mul_f32_dpp v74, v26, v74 row_newbcast:6 row_mask:0xf bank_mask:0xf// 000000003654: 0A9494FA FF01561A
	v_mul_f32_dpp v75, v26, v75 row_newbcast:7 row_mask:0xf bank_mask:0xf// 00000000365C: 0A9696FA FF01571A
	v_mul_f32_e32 v30, v30, v76                                // 000000003664: 0A3C991E
	v_mov_b32_e32 v4, v30                                      // 000000003668: 7E08031E
	v_mov_b32_e32 v5, v4                                       // 00000000366C: 7E0A0304
	v_pk_mul_f32 v[44:45], v[4:5], v[44:45]                    // 000000003670: D3B1402C 18025904
	v_pk_mul_f32 v[60:61], v[4:5], v[60:61]                    // 000000003678: D3B1403C 18027904
	v_pk_mul_f32 v[46:47], v[4:5], v[46:47]                    // 000000003680: D3B1402E 18025D04
	v_pk_mul_f32 v[62:63], v[4:5], v[62:63]                    // 000000003688: D3B1403E 18027D04
	v_pk_mul_f32 v[52:53], v[4:5], v[52:53]                    // 000000003690: D3B14034 18026904
	v_pk_mul_f32 v[68:69], v[4:5], v[68:69]                    // 000000003698: D3B14044 18028904
	v_pk_mul_f32 v[54:55], v[4:5], v[54:55]                    // 0000000036A0: D3B14036 18026D04
	v_pk_mul_f32 v[70:71], v[4:5], v[70:71]                    // 0000000036A8: D3B14046 18028D04
	v_mul_f32_e32 v31, v31, v77                                // 0000000036B0: 0A3E9B1F
	v_mov_b32_e32 v4, v31                                      // 0000000036B4: 7E08031F
	v_mov_b32_e32 v5, v4                                       // 0000000036B8: 7E0A0304
	v_pk_mul_f32 v[48:49], v[4:5], v[48:49]                    // 0000000036BC: D3B14030 18026104
	v_pk_mul_f32 v[64:65], v[4:5], v[64:65]                    // 0000000036C4: D3B14040 18028104
	v_pk_mul_f32 v[50:51], v[4:5], v[50:51]                    // 0000000036CC: D3B14032 18026504
	v_pk_mul_f32 v[66:67], v[4:5], v[66:67]                    // 0000000036D4: D3B14042 18028504
	v_pk_mul_f32 v[56:57], v[4:5], v[56:57]                    // 0000000036DC: D3B14038 18027104
	v_pk_mul_f32 v[72:73], v[4:5], v[72:73]                    // 0000000036E4: D3B14048 18029104
	v_pk_mul_f32 v[58:59], v[4:5], v[58:59]                    // 0000000036EC: D3B1403A 18027504
	v_pk_mul_f32 v[74:75], v[4:5], v[74:75]                    // 0000000036F4: D3B1404A 18029504
	s_cmp_eq_u32 s88, 0                                        // 0000000036FC: BF068058
	s_cbranch_scc0 label_05B2                                  // 000000003700: BF840271
	s_cmp_eq_u32 s89, 0                                        // 000000003704: BF068059
	s_cbranch_scc1 label_03E8                                  // 000000003708: BF8500A5
	v_mov_b32_e32 v8, v1                                       // 00000000370C: 7E100301
	v_mov_b32_e32 v9, v1                                       // 000000003710: 7E120301
	s_mov_b32 s60, s6                                          // 000000003714: BEBC0006
	s_mov_b32 s61, s6                                          // 000000003718: BEBD0006
	v_pk_mul_f32 v[4:5], v[44:45], v[44:45]                    // 00000000371C: D3B14004 1802592C
	v_pk_mul_f32 v[6:7], v[46:47], v[46:47]                    // 000000003724: D3B14006 18025D2E
	v_pk_fma_f32 v[4:5], v[4:5], s[78:79], v[8:9]              // 00000000372C: D3B04004 1C209D04
	v_pk_fma_f32 v[6:7], v[6:7], s[78:79], v[8:9]              // 000000003734: D3B04006 1C209D06
	v_pk_mul_f32 v[4:5], v[4:5], v[44:45]                      // 00000000373C: D3B14004 18025904
	v_pk_mul_f32 v[6:7], v[6:7], v[46:47]                      // 000000003744: D3B14006 18025D06
	v_pk_mul_f32 v[4:5], v[4:5], s[60:61]                      // 00000000374C: D3B14004 18007904
	v_pk_mul_f32 v[6:7], v[6:7], s[60:61]                      // 000000003754: D3B14006 18007906
	v_exp_f32_e32 v4, v4                                       // 00000000375C: 7E084104
	v_exp_f32_e32 v5, v5                                       // 000000003760: 7E0A4105
	v_exp_f32_e32 v6, v6                                       // 000000003764: 7E0C4106
	v_exp_f32_e32 v7, v7                                       // 000000003768: 7E0E4107
	v_add_f32_e64 v4, v4, 1.0                                  // 00000000376C: D1010004 0001E504
	v_add_f32_e64 v5, v5, 1.0                                  // 000000003774: D1010005 0001E505
	v_add_f32_e64 v6, v6, 1.0                                  // 00000000377C: D1010006 0001E506
	v_add_f32_e64 v7, v7, 1.0                                  // 000000003784: D1010007 0001E507
	v_rcp_f32_e32 v4, v4                                       // 00000000378C: 7E084504
	v_rcp_f32_e32 v5, v5                                       // 000000003790: 7E0A4505
	v_rcp_f32_e32 v6, v6                                       // 000000003794: 7E0C4506
	v_rcp_f32_e32 v7, v7                                       // 000000003798: 7E0E4507
	v_mul_f32_e32 v44, v44, v4                                 // 00000000379C: 0A58092C
	v_mul_f32_e32 v45, v45, v5                                 // 0000000037A0: 0A5A0B2D
	v_mul_f32_e32 v46, v46, v6                                 // 0000000037A4: 0A5C0D2E
	v_mul_f32_e32 v47, v47, v7                                 // 0000000037A8: 0A5E0F2F
	v_mul_f32_e32 v44, v44, v60                                // 0000000037AC: 0A58792C
	v_mul_f32_e32 v45, v45, v61                                // 0000000037B0: 0A5A7B2D
	v_mul_f32_e32 v46, v46, v62                                // 0000000037B4: 0A5C7D2E
	v_mul_f32_e32 v47, v47, v63                                // 0000000037B8: 0A5E7F2F
	v_pk_mul_f32 v[4:5], v[48:49], v[48:49]                    // 0000000037BC: D3B14004 18026130
	v_pk_mul_f32 v[6:7], v[50:51], v[50:51]                    // 0000000037C4: D3B14006 18026532
	v_pk_fma_f32 v[4:5], v[4:5], s[78:79], v[8:9]              // 0000000037CC: D3B04004 1C209D04
	v_pk_fma_f32 v[6:7], v[6:7], s[78:79], v[8:9]              // 0000000037D4: D3B04006 1C209D06
	v_pk_mul_f32 v[4:5], v[4:5], v[48:49]                      // 0000000037DC: D3B14004 18026104
	v_pk_mul_f32 v[6:7], v[6:7], v[50:51]                      // 0000000037E4: D3B14006 18026506
	v_pk_mul_f32 v[4:5], v[4:5], s[60:61]                      // 0000000037EC: D3B14004 18007904
	v_pk_mul_f32 v[6:7], v[6:7], s[60:61]                      // 0000000037F4: D3B14006 18007906
	v_exp_f32_e32 v4, v4                                       // 0000000037FC: 7E084104
	v_exp_f32_e32 v5, v5                                       // 000000003800: 7E0A4105
	v_exp_f32_e32 v6, v6                                       // 000000003804: 7E0C4106
	v_exp_f32_e32 v7, v7                                       // 000000003808: 7E0E4107
	v_add_f32_e64 v4, v4, 1.0                                  // 00000000380C: D1010004 0001E504
	v_add_f32_e64 v5, v5, 1.0                                  // 000000003814: D1010005 0001E505
	v_add_f32_e64 v6, v6, 1.0                                  // 00000000381C: D1010006 0001E506
	v_add_f32_e64 v7, v7, 1.0                                  // 000000003824: D1010007 0001E507
	v_rcp_f32_e32 v4, v4                                       // 00000000382C: 7E084504
	v_rcp_f32_e32 v5, v5                                       // 000000003830: 7E0A4505
	v_rcp_f32_e32 v6, v6                                       // 000000003834: 7E0C4506
	v_rcp_f32_e32 v7, v7                                       // 000000003838: 7E0E4507
	v_mul_f32_e32 v48, v48, v4                                 // 00000000383C: 0A600930
	v_mul_f32_e32 v49, v49, v5                                 // 000000003840: 0A620B31
	v_mul_f32_e32 v50, v50, v6                                 // 000000003844: 0A640D32
	v_mul_f32_e32 v51, v51, v7                                 // 000000003848: 0A660F33
	v_mul_f32_e32 v48, v48, v64                                // 00000000384C: 0A608130
	v_mul_f32_e32 v49, v49, v65                                // 000000003850: 0A628331
	v_mul_f32_e32 v50, v50, v66                                // 000000003854: 0A648532
	v_mul_f32_e32 v51, v51, v67                                // 000000003858: 0A668733
	v_pk_mul_f32 v[4:5], v[52:53], v[52:53]                    // 00000000385C: D3B14004 18026934
	v_pk_mul_f32 v[6:7], v[54:55], v[54:55]                    // 000000003864: D3B14006 18026D36
	v_pk_fma_f32 v[4:5], v[4:5], s[78:79], v[8:9]              // 00000000386C: D3B04004 1C209D04
	v_pk_fma_f32 v[6:7], v[6:7], s[78:79], v[8:9]              // 000000003874: D3B04006 1C209D06
	v_pk_mul_f32 v[4:5], v[4:5], v[52:53]                      // 00000000387C: D3B14004 18026904
	v_pk_mul_f32 v[6:7], v[6:7], v[54:55]                      // 000000003884: D3B14006 18026D06
	v_pk_mul_f32 v[4:5], v[4:5], s[60:61]                      // 00000000388C: D3B14004 18007904
	v_pk_mul_f32 v[6:7], v[6:7], s[60:61]                      // 000000003894: D3B14006 18007906
	v_exp_f32_e32 v4, v4                                       // 00000000389C: 7E084104
	v_exp_f32_e32 v5, v5                                       // 0000000038A0: 7E0A4105
	v_exp_f32_e32 v6, v6                                       // 0000000038A4: 7E0C4106
	v_exp_f32_e32 v7, v7                                       // 0000000038A8: 7E0E4107
	v_add_f32_e64 v4, v4, 1.0                                  // 0000000038AC: D1010004 0001E504
	v_add_f32_e64 v5, v5, 1.0                                  // 0000000038B4: D1010005 0001E505
	v_add_f32_e64 v6, v6, 1.0                                  // 0000000038BC: D1010006 0001E506
	v_add_f32_e64 v7, v7, 1.0                                  // 0000000038C4: D1010007 0001E507
	v_rcp_f32_e32 v4, v4                                       // 0000000038CC: 7E084504
	v_rcp_f32_e32 v5, v5                                       // 0000000038D0: 7E0A4505
	v_rcp_f32_e32 v6, v6                                       // 0000000038D4: 7E0C4506
	v_rcp_f32_e32 v7, v7                                       // 0000000038D8: 7E0E4507
	v_mul_f32_e32 v52, v52, v4                                 // 0000000038DC: 0A680934
	v_mul_f32_e32 v53, v53, v5                                 // 0000000038E0: 0A6A0B35
	v_mul_f32_e32 v54, v54, v6                                 // 0000000038E4: 0A6C0D36
	v_mul_f32_e32 v55, v55, v7                                 // 0000000038E8: 0A6E0F37
	v_mul_f32_e32 v52, v52, v68                                // 0000000038EC: 0A688934
	v_mul_f32_e32 v53, v53, v69                                // 0000000038F0: 0A6A8B35
	v_mul_f32_e32 v54, v54, v70                                // 0000000038F4: 0A6C8D36
	v_mul_f32_e32 v55, v55, v71                                // 0000000038F8: 0A6E8F37
	v_pk_mul_f32 v[4:5], v[56:57], v[56:57]                    // 0000000038FC: D3B14004 18027138
	v_pk_mul_f32 v[6:7], v[58:59], v[58:59]                    // 000000003904: D3B14006 1802753A
	v_pk_fma_f32 v[4:5], v[4:5], s[78:79], v[8:9]              // 00000000390C: D3B04004 1C209D04
	v_pk_fma_f32 v[6:7], v[6:7], s[78:79], v[8:9]              // 000000003914: D3B04006 1C209D06
	v_pk_mul_f32 v[4:5], v[4:5], v[56:57]                      // 00000000391C: D3B14004 18027104
	v_pk_mul_f32 v[6:7], v[6:7], v[58:59]                      // 000000003924: D3B14006 18027506
	v_pk_mul_f32 v[4:5], v[4:5], s[60:61]                      // 00000000392C: D3B14004 18007904
	v_pk_mul_f32 v[6:7], v[6:7], s[60:61]                      // 000000003934: D3B14006 18007906
	v_exp_f32_e32 v4, v4                                       // 00000000393C: 7E084104
	v_exp_f32_e32 v5, v5                                       // 000000003940: 7E0A4105
	v_exp_f32_e32 v6, v6                                       // 000000003944: 7E0C4106
	v_exp_f32_e32 v7, v7                                       // 000000003948: 7E0E4107
	v_add_f32_e64 v4, v4, 1.0                                  // 00000000394C: D1010004 0001E504
	v_add_f32_e64 v5, v5, 1.0                                  // 000000003954: D1010005 0001E505
	v_add_f32_e64 v6, v6, 1.0                                  // 00000000395C: D1010006 0001E506
	v_add_f32_e64 v7, v7, 1.0                                  // 000000003964: D1010007 0001E507
	v_rcp_f32_e32 v4, v4                                       // 00000000396C: 7E084504
	v_rcp_f32_e32 v5, v5                                       // 000000003970: 7E0A4505
	v_rcp_f32_e32 v6, v6                                       // 000000003974: 7E0C4506
	v_rcp_f32_e32 v7, v7                                       // 000000003978: 7E0E4507
	v_mul_f32_e32 v56, v56, v4                                 // 00000000397C: 0A700938
	v_mul_f32_e32 v57, v57, v5                                 // 000000003980: 0A720B39
	v_mul_f32_e32 v58, v58, v6                                 // 000000003984: 0A740D3A
	v_mul_f32_e32 v59, v59, v7                                 // 000000003988: 0A760F3B
	v_mul_f32_e32 v56, v56, v72                                // 00000000398C: 0A709138
	v_mul_f32_e32 v57, v57, v73                                // 000000003990: 0A729339
	v_mul_f32_e32 v58, v58, v74                                // 000000003994: 0A74953A
	v_mul_f32_e32 v59, v59, v75                                // 000000003998: 0A76973B
	s_branch label_0468                                        // 00000000399C: BF820080

00000000000039a0 <label_03E8>:
	v_mul_f32_e64 v4, -v44, s6                                 // 0000000039A0: D1050004 20000D2C
	v_mul_f32_e64 v5, -v45, s6                                 // 0000000039A8: D1050005 20000D2D
	v_mul_f32_e64 v6, -v46, s6                                 // 0000000039B0: D1050006 20000D2E
	v_mul_f32_e64 v7, -v47, s6                                 // 0000000039B8: D1050007 20000D2F
	v_exp_f32_e32 v4, v4                                       // 0000000039C0: 7E084104
	v_exp_f32_e32 v5, v5                                       // 0000000039C4: 7E0A4105
	v_exp_f32_e32 v6, v6                                       // 0000000039C8: 7E0C4106
	v_exp_f32_e32 v7, v7                                       // 0000000039CC: 7E0E4107
	v_add_f32_e64 v4, v4, 1.0                                  // 0000000039D0: D1010004 0001E504
	v_add_f32_e64 v5, v5, 1.0                                  // 0000000039D8: D1010005 0001E505
	v_add_f32_e64 v6, v6, 1.0                                  // 0000000039E0: D1010006 0001E506
	v_add_f32_e64 v7, v7, 1.0                                  // 0000000039E8: D1010007 0001E507
	v_rcp_f32_e32 v4, v4                                       // 0000000039F0: 7E084504
	v_rcp_f32_e32 v5, v5                                       // 0000000039F4: 7E0A4505
	v_rcp_f32_e32 v6, v6                                       // 0000000039F8: 7E0C4506
	v_rcp_f32_e32 v7, v7                                       // 0000000039FC: 7E0E4507
	v_mul_f32_e32 v44, v44, v4                                 // 000000003A00: 0A58092C
	v_mul_f32_e32 v45, v45, v5                                 // 000000003A04: 0A5A0B2D
	v_mul_f32_e32 v46, v46, v6                                 // 000000003A08: 0A5C0D2E
	v_mul_f32_e32 v47, v47, v7                                 // 000000003A0C: 0A5E0F2F
	v_mul_f32_e32 v44, v44, v60                                // 000000003A10: 0A58792C
	v_mul_f32_e32 v45, v45, v61                                // 000000003A14: 0A5A7B2D
	v_mul_f32_e32 v46, v46, v62                                // 000000003A18: 0A5C7D2E
	v_mul_f32_e32 v47, v47, v63                                // 000000003A1C: 0A5E7F2F
	v_mul_f32_e64 v4, -v48, s6                                 // 000000003A20: D1050004 20000D30
	v_mul_f32_e64 v5, -v49, s6                                 // 000000003A28: D1050005 20000D31
	v_mul_f32_e64 v6, -v50, s6                                 // 000000003A30: D1050006 20000D32
	v_mul_f32_e64 v7, -v51, s6                                 // 000000003A38: D1050007 20000D33
	v_exp_f32_e32 v4, v4                                       // 000000003A40: 7E084104
	v_exp_f32_e32 v5, v5                                       // 000000003A44: 7E0A4105
	v_exp_f32_e32 v6, v6                                       // 000000003A48: 7E0C4106
	v_exp_f32_e32 v7, v7                                       // 000000003A4C: 7E0E4107
	v_add_f32_e64 v4, v4, 1.0                                  // 000000003A50: D1010004 0001E504
	v_add_f32_e64 v5, v5, 1.0                                  // 000000003A58: D1010005 0001E505
	v_add_f32_e64 v6, v6, 1.0                                  // 000000003A60: D1010006 0001E506
	v_add_f32_e64 v7, v7, 1.0                                  // 000000003A68: D1010007 0001E507
	v_rcp_f32_e32 v4, v4                                       // 000000003A70: 7E084504
	v_rcp_f32_e32 v5, v5                                       // 000000003A74: 7E0A4505
	v_rcp_f32_e32 v6, v6                                       // 000000003A78: 7E0C4506
	v_rcp_f32_e32 v7, v7                                       // 000000003A7C: 7E0E4507
	v_mul_f32_e32 v48, v48, v4                                 // 000000003A80: 0A600930
	v_mul_f32_e32 v49, v49, v5                                 // 000000003A84: 0A620B31
	v_mul_f32_e32 v50, v50, v6                                 // 000000003A88: 0A640D32
	v_mul_f32_e32 v51, v51, v7                                 // 000000003A8C: 0A660F33
	v_mul_f32_e32 v48, v48, v64                                // 000000003A90: 0A608130
	v_mul_f32_e32 v49, v49, v65                                // 000000003A94: 0A628331
	v_mul_f32_e32 v50, v50, v66                                // 000000003A98: 0A648532
	v_mul_f32_e32 v51, v51, v67                                // 000000003A9C: 0A668733
	v_mul_f32_e64 v4, -v52, s6                                 // 000000003AA0: D1050004 20000D34
	v_mul_f32_e64 v5, -v53, s6                                 // 000000003AA8: D1050005 20000D35
	v_mul_f32_e64 v6, -v54, s6                                 // 000000003AB0: D1050006 20000D36
	v_mul_f32_e64 v7, -v55, s6                                 // 000000003AB8: D1050007 20000D37
	v_exp_f32_e32 v4, v4                                       // 000000003AC0: 7E084104
	v_exp_f32_e32 v5, v5                                       // 000000003AC4: 7E0A4105
	v_exp_f32_e32 v6, v6                                       // 000000003AC8: 7E0C4106
	v_exp_f32_e32 v7, v7                                       // 000000003ACC: 7E0E4107
	v_add_f32_e64 v4, v4, 1.0                                  // 000000003AD0: D1010004 0001E504
	v_add_f32_e64 v5, v5, 1.0                                  // 000000003AD8: D1010005 0001E505
	v_add_f32_e64 v6, v6, 1.0                                  // 000000003AE0: D1010006 0001E506
	v_add_f32_e64 v7, v7, 1.0                                  // 000000003AE8: D1010007 0001E507
	v_rcp_f32_e32 v4, v4                                       // 000000003AF0: 7E084504
	v_rcp_f32_e32 v5, v5                                       // 000000003AF4: 7E0A4505
	v_rcp_f32_e32 v6, v6                                       // 000000003AF8: 7E0C4506
	v_rcp_f32_e32 v7, v7                                       // 000000003AFC: 7E0E4507
	v_mul_f32_e32 v52, v52, v4                                 // 000000003B00: 0A680934
	v_mul_f32_e32 v53, v53, v5                                 // 000000003B04: 0A6A0B35
	v_mul_f32_e32 v54, v54, v6                                 // 000000003B08: 0A6C0D36
	v_mul_f32_e32 v55, v55, v7                                 // 000000003B0C: 0A6E0F37
	v_mul_f32_e32 v52, v52, v68                                // 000000003B10: 0A688934
	v_mul_f32_e32 v53, v53, v69                                // 000000003B14: 0A6A8B35
	v_mul_f32_e32 v54, v54, v70                                // 000000003B18: 0A6C8D36
	v_mul_f32_e32 v55, v55, v71                                // 000000003B1C: 0A6E8F37
	v_mul_f32_e64 v4, -v56, s6                                 // 000000003B20: D1050004 20000D38
	v_mul_f32_e64 v5, -v57, s6                                 // 000000003B28: D1050005 20000D39
	v_mul_f32_e64 v6, -v58, s6                                 // 000000003B30: D1050006 20000D3A
	v_mul_f32_e64 v7, -v59, s6                                 // 000000003B38: D1050007 20000D3B
	v_exp_f32_e32 v4, v4                                       // 000000003B40: 7E084104
	v_exp_f32_e32 v5, v5                                       // 000000003B44: 7E0A4105
	v_exp_f32_e32 v6, v6                                       // 000000003B48: 7E0C4106
	v_exp_f32_e32 v7, v7                                       // 000000003B4C: 7E0E4107
	v_add_f32_e64 v4, v4, 1.0                                  // 000000003B50: D1010004 0001E504
	v_add_f32_e64 v5, v5, 1.0                                  // 000000003B58: D1010005 0001E505
	v_add_f32_e64 v6, v6, 1.0                                  // 000000003B60: D1010006 0001E506
	v_add_f32_e64 v7, v7, 1.0                                  // 000000003B68: D1010007 0001E507
	v_rcp_f32_e32 v4, v4                                       // 000000003B70: 7E084504
	v_rcp_f32_e32 v5, v5                                       // 000000003B74: 7E0A4505
	v_rcp_f32_e32 v6, v6                                       // 000000003B78: 7E0C4506
	v_rcp_f32_e32 v7, v7                                       // 000000003B7C: 7E0E4507
	v_mul_f32_e32 v56, v56, v4                                 // 000000003B80: 0A700938
	v_mul_f32_e32 v57, v57, v5                                 // 000000003B84: 0A720B39
	v_mul_f32_e32 v58, v58, v6                                 // 000000003B88: 0A740D3A
	v_mul_f32_e32 v59, v59, v7                                 // 000000003B8C: 0A760F3B
	v_mul_f32_e32 v56, v56, v72                                // 000000003B90: 0A709138
	v_mul_f32_e32 v57, v57, v73                                // 000000003B94: 0A729339
	v_mul_f32_e32 v58, v58, v74                                // 000000003B98: 0A74953A
	v_mul_f32_e32 v59, v59, v75                                // 000000003B9C: 0A76973B

0000000000003ba0 <label_0468>:
	v_cmp_u_f32_e64 s[46:47], v44, v44                         // 000000003BA0: D048002E 0002592C
	v_add3_u32 v16, v44, v19, 1                                // 000000003BA8: D1FF0010 0206272C
	v_cndmask_b32_e64 v4, v16, v18, s[46:47]                   // 000000003BB0: D1000004 00BA2510
	v_cmp_u_f32_e64 s[46:47], v45, v45                         // 000000003BB8: D048002E 00025B2D
	v_add3_u32 v16, v45, v19, 1                                // 000000003BC0: D1FF0010 0206272D
	v_cndmask_b32_e64 v5, v16, v18, s[46:47]                   // 000000003BC8: D1000005 00BA2510
	v_perm_b32 v44, v5, v4, s52                                // 000000003BD0: D1ED002C 00D20905
	v_cmp_u_f32_e64 s[46:47], v46, v46                         // 000000003BD8: D048002E 00025D2E
	v_add3_u32 v16, v46, v19, 1                                // 000000003BE0: D1FF0010 0206272E
	v_cndmask_b32_e64 v4, v16, v18, s[46:47]                   // 000000003BE8: D1000004 00BA2510
	v_cmp_u_f32_e64 s[46:47], v47, v47                         // 000000003BF0: D048002E 00025F2F
	v_add3_u32 v16, v47, v19, 1                                // 000000003BF8: D1FF0010 0206272F
	v_cndmask_b32_e64 v5, v16, v18, s[46:47]                   // 000000003C00: D1000005 00BA2510
	v_perm_b32 v45, v5, v4, s52                                // 000000003C08: D1ED002D 00D20905
	v_cmp_u_f32_e64 s[46:47], v48, v48                         // 000000003C10: D048002E 00026130
	v_add3_u32 v16, v48, v19, 1                                // 000000003C18: D1FF0010 02062730
	v_cndmask_b32_e64 v4, v16, v18, s[46:47]                   // 000000003C20: D1000004 00BA2510
	v_cmp_u_f32_e64 s[46:47], v49, v49                         // 000000003C28: D048002E 00026331
	v_add3_u32 v16, v49, v19, 1                                // 000000003C30: D1FF0010 02062731
	v_cndmask_b32_e64 v5, v16, v18, s[46:47]                   // 000000003C38: D1000005 00BA2510
	v_perm_b32 v46, v5, v4, s52                                // 000000003C40: D1ED002E 00D20905
	v_cmp_u_f32_e64 s[46:47], v50, v50                         // 000000003C48: D048002E 00026532
	v_add3_u32 v16, v50, v19, 1                                // 000000003C50: D1FF0010 02062732
	v_cndmask_b32_e64 v4, v16, v18, s[46:47]                   // 000000003C58: D1000004 00BA2510
	v_cmp_u_f32_e64 s[46:47], v51, v51                         // 000000003C60: D048002E 00026733
	v_add3_u32 v16, v51, v19, 1                                // 000000003C68: D1FF0010 02062733
	v_cndmask_b32_e64 v5, v16, v18, s[46:47]                   // 000000003C70: D1000005 00BA2510
	v_perm_b32 v47, v5, v4, s52                                // 000000003C78: D1ED002F 00D20905
	v_cmp_u_f32_e64 s[46:47], v52, v52                         // 000000003C80: D048002E 00026934
	v_add3_u32 v16, v52, v19, 1                                // 000000003C88: D1FF0010 02062734
	v_cndmask_b32_e64 v4, v16, v18, s[46:47]                   // 000000003C90: D1000004 00BA2510
	v_cmp_u_f32_e64 s[46:47], v53, v53                         // 000000003C98: D048002E 00026B35
	v_add3_u32 v16, v53, v19, 1                                // 000000003CA0: D1FF0010 02062735
	v_cndmask_b32_e64 v5, v16, v18, s[46:47]                   // 000000003CA8: D1000005 00BA2510
	v_perm_b32 v48, v5, v4, s52                                // 000000003CB0: D1ED0030 00D20905
	v_cmp_u_f32_e64 s[46:47], v54, v54                         // 000000003CB8: D048002E 00026D36
	v_add3_u32 v16, v54, v19, 1                                // 000000003CC0: D1FF0010 02062736
	v_cndmask_b32_e64 v4, v16, v18, s[46:47]                   // 000000003CC8: D1000004 00BA2510
	v_cmp_u_f32_e64 s[46:47], v55, v55                         // 000000003CD0: D048002E 00026F37
	v_add3_u32 v16, v55, v19, 1                                // 000000003CD8: D1FF0010 02062737
	v_cndmask_b32_e64 v5, v16, v18, s[46:47]                   // 000000003CE0: D1000005 00BA2510
	v_perm_b32 v49, v5, v4, s52                                // 000000003CE8: D1ED0031 00D20905
	v_cmp_u_f32_e64 s[46:47], v56, v56                         // 000000003CF0: D048002E 00027138
	v_add3_u32 v16, v56, v19, 1                                // 000000003CF8: D1FF0010 02062738
	v_cndmask_b32_e64 v4, v16, v18, s[46:47]                   // 000000003D00: D1000004 00BA2510
	v_cmp_u_f32_e64 s[46:47], v57, v57                         // 000000003D08: D048002E 00027339
	v_add3_u32 v16, v57, v19, 1                                // 000000003D10: D1FF0010 02062739
	v_cndmask_b32_e64 v5, v16, v18, s[46:47]                   // 000000003D18: D1000005 00BA2510
	v_perm_b32 v50, v5, v4, s52                                // 000000003D20: D1ED0032 00D20905
	v_cmp_u_f32_e64 s[46:47], v58, v58                         // 000000003D28: D048002E 0002753A
	v_add3_u32 v16, v58, v19, 1                                // 000000003D30: D1FF0010 0206273A
	v_cndmask_b32_e64 v4, v16, v18, s[46:47]                   // 000000003D38: D1000004 00BA2510
	v_cmp_u_f32_e64 s[46:47], v59, v59                         // 000000003D40: D048002E 0002773B
	v_add3_u32 v16, v59, v19, 1                                // 000000003D48: D1FF0010 0206273B
	v_cndmask_b32_e64 v5, v16, v18, s[46:47]                   // 000000003D50: D1000005 00BA2510
	v_perm_b32 v51, v5, v4, s52                                // 000000003D58: D1ED0033 00D20905
	ds_write_b64 v20, v[44:45]                                 // 000000003D60: D89A0000 00002C14
	ds_write_b64 v20, v[46:47] offset:4352                     // 000000003D68: D89A1100 00002E14
	ds_write_b64 v20, v[48:49] offset:2176                     // 000000003D70: D89A0880 00003014
	ds_write_b64 v20, v[50:51] offset:6528                     // 000000003D78: D89A1980 00003214
	v_lshrrev_b32_e32 v4, 5, v0                                // 000000003D80: 20080085
	v_xor_b32_e32 v5, 1, v4                                    // 000000003D84: 2A0A0881
	s_mul_i32 s60, s65, 2                                      // 000000003D88: 923C8241
	s_cmp_eq_u32 s88, 0                                        // 000000003D8C: BF068058
	s_cselect_b32 s61, 1, 4                                    // 000000003D90: 853D8481
	s_mul_i32 s60, s61, s60                                    // 000000003D94: 923C3C3D
	v_readlane_b32 s82, v3, 0                                  // 000000003D98: D2890052 00010103
	s_lshr_b32 s61, s82, 24                                    // 000000003DA0: 8F3D9852
	s_and_b32 s82, s82, 0xffffff                               // 000000003DA4: 8652FF52 00FFFFFF
	s_mul_i32 s82, s82, s71                                    // 000000003DAC: 92524752
	s_mul_i32 s61, s60, s61                                    // 000000003DB0: 923D3D3C
	s_add_u32 s82, s82, s61                                    // 000000003DB4: 80523D52
	v_mul_lo_u32 v6, v5, s82                                   // 000000003DB8: D2850006 0000A505
	v_readlane_b32 s82, v3, 1                                  // 000000003DC0: D2890052 00010303
	s_lshr_b32 s61, s82, 24                                    // 000000003DC8: 8F3D9852
	s_and_b32 s82, s82, 0xffffff                               // 000000003DCC: 8652FF52 00FFFFFF
	s_mul_i32 s82, s82, s71                                    // 000000003DD4: 92524752
	s_mul_i32 s61, s60, s61                                    // 000000003DD8: 923D3D3C
	s_add_u32 s82, s82, s61                                    // 000000003DDC: 80523D52
	v_mul_lo_u32 v7, v4, s82                                   // 000000003DE0: D2850007 0000A504
	v_add_u32_e32 v36, v6, v7                                  // 000000003DE8: 68480F06
	v_readlane_b32 s82, v3, 2                                  // 000000003DEC: D2890052 00010503
	s_lshr_b32 s61, s82, 24                                    // 000000003DF4: 8F3D9852
	s_and_b32 s82, s82, 0xffffff                               // 000000003DF8: 8652FF52 00FFFFFF
	s_mul_i32 s82, s82, s71                                    // 000000003E00: 92524752
	s_mul_i32 s61, s60, s61                                    // 000000003E04: 923D3D3C
	s_add_u32 s82, s82, s61                                    // 000000003E08: 80523D52
	v_mul_lo_u32 v6, v5, s82                                   // 000000003E0C: D2850006 0000A505
	v_readlane_b32 s82, v3, 3                                  // 000000003E14: D2890052 00010703
	s_lshr_b32 s61, s82, 24                                    // 000000003E1C: 8F3D9852
	s_and_b32 s82, s82, 0xffffff                               // 000000003E20: 8652FF52 00FFFFFF
	s_mul_i32 s82, s82, s71                                    // 000000003E28: 92524752
	s_mul_i32 s61, s60, s61                                    // 000000003E2C: 923D3D3C
	s_add_u32 s82, s82, s61                                    // 000000003E30: 80523D52
	v_mul_lo_u32 v7, v4, s82                                   // 000000003E34: D2850007 0000A504
	v_add_u32_e32 v37, v6, v7                                  // 000000003E3C: 684A0F06
	v_readlane_b32 s82, v3, 4                                  // 000000003E40: D2890052 00010903
	s_lshr_b32 s61, s82, 24                                    // 000000003E48: 8F3D9852
	s_and_b32 s82, s82, 0xffffff                               // 000000003E4C: 8652FF52 00FFFFFF
	s_mul_i32 s82, s82, s71                                    // 000000003E54: 92524752
	s_mul_i32 s61, s60, s61                                    // 000000003E58: 923D3D3C
	s_add_u32 s82, s82, s61                                    // 000000003E5C: 80523D52
	v_mul_lo_u32 v6, v5, s82                                   // 000000003E60: D2850006 0000A505
	v_readlane_b32 s82, v3, 5                                  // 000000003E68: D2890052 00010B03
	s_lshr_b32 s61, s82, 24                                    // 000000003E70: 8F3D9852
	s_and_b32 s82, s82, 0xffffff                               // 000000003E74: 8652FF52 00FFFFFF
	s_mul_i32 s82, s82, s71                                    // 000000003E7C: 92524752
	s_mul_i32 s61, s60, s61                                    // 000000003E80: 923D3D3C
	s_add_u32 s82, s82, s61                                    // 000000003E84: 80523D52
	v_mul_lo_u32 v7, v4, s82                                   // 000000003E88: D2850007 0000A504
	v_add_u32_e32 v38, v6, v7                                  // 000000003E90: 684C0F06
	v_readlane_b32 s82, v3, 6                                  // 000000003E94: D2890052 00010D03
	s_lshr_b32 s61, s82, 24                                    // 000000003E9C: 8F3D9852
	s_and_b32 s82, s82, 0xffffff                               // 000000003EA0: 8652FF52 00FFFFFF
	s_mul_i32 s82, s82, s71                                    // 000000003EA8: 92524752
	s_mul_i32 s61, s60, s61                                    // 000000003EAC: 923D3D3C
	s_add_u32 s82, s82, s61                                    // 000000003EB0: 80523D52
	v_mul_lo_u32 v6, v5, s82                                   // 000000003EB4: D2850006 0000A505
	v_readlane_b32 s82, v3, 7                                  // 000000003EBC: D2890052 00010F03
	s_lshr_b32 s61, s82, 24                                    // 000000003EC4: 8F3D9852
	s_and_b32 s82, s82, 0xffffff                               // 000000003EC8: 8652FF52 00FFFFFF
	s_mul_i32 s82, s82, s71                                    // 000000003ED0: 92524752
	s_mul_i32 s61, s60, s61                                    // 000000003ED4: 923D3D3C
	s_add_u32 s82, s82, s61                                    // 000000003ED8: 80523D52
	v_mul_lo_u32 v7, v4, s82                                   // 000000003EDC: D2850007 0000A504
	v_add_u32_e32 v39, v6, v7                                  // 000000003EE4: 684E0F06
	v_and_b32_e32 v4, 31, v0                                   // 000000003EE8: 2608009F
	v_lshrrev_b32_e32 v4, 1, v4                                // 000000003EEC: 20080881
	s_cmp_eq_u32 s88, 0                                        // 000000003EF0: BF068058
	s_cselect_b32 s61, 2, 4                                    // 000000003EF4: 853D8482
	v_mul_lo_u32 v4, v4, s61                                   // 000000003EF8: D2850004 00007B04
	v_and_b32_e64 v5, v0, 1                                    // 000000003F00: D1130005 00010300
	v_add_u32_e32 v4, v4, v5                                   // 000000003F08: 68080B04
	v_lshlrev_b32_e32 v4, 2, v4                                // 000000003F0C: 24080882
	v_add_u32_e32 v36, v36, v4                                 // 000000003F10: 68480924
	v_add_u32_e32 v37, v37, v4                                 // 000000003F14: 684A0925
	v_add_u32_e32 v38, v38, v4                                 // 000000003F18: 684C0926
	v_add_u32_e32 v39, v39, v4                                 // 000000003F1C: 684E0927
	s_waitcnt lgkmcnt(0)                                       // 000000003F20: BF8CC07F
	s_barrier                                                  // 000000003F24: BF8A0000
	ds_read_b32 v44, v21                                       // 000000003F28: D86C0000 2C000015
	ds_read_b32 v45, v21 offset:64                             // 000000003F30: D86C0040 2D000015
	ds_read_b32 v46, v21 offset:2176                           // 000000003F38: D86C0880 2E000015
	ds_read_b32 v47, v21 offset:2240                           // 000000003F40: D86C08C0 2F000015
	ds_read_b32 v48, v21 offset:4352                           // 000000003F48: D86C1100 30000015
	ds_read_b32 v49, v21 offset:4416                           // 000000003F50: D86C1140 31000015
	ds_read_b32 v50, v21 offset:6528                           // 000000003F58: D86C1980 32000015
	ds_read_b32 v51, v21 offset:6592                           // 000000003F60: D86C19C0 33000015
	s_waitcnt lgkmcnt(0)                                       // 000000003F68: BF8CC07F
	s_mov_b32 s36, -1                                          // 000000003F6C: BEA400C1
	s_mov_b32 s37, -1                                          // 000000003F70: BEA500C1
	v_mov_b32_e32 v7, 0                                        // 000000003F74: 7E0E0280
	s_or_b32 s9, s9, 0x40000                                   // 000000003F78: 8709FF09 00040000
	s_mov_b64 exec, s[36:37]                                   // 000000003F80: BEFE0124
	v_mov_b32_e32 v6, v36                                      // 000000003F84: 7E0C0324
	s_mov_b64 s[60:61], 0                                      // 000000003F88: BEBC0180
	v_readlane_b32 s82, v3, 0                                  // 000000003F8C: D2890052 00010103
	s_and_b32 s82, s82, 0xffffff                               // 000000003F94: 8652FF52 00FFFFFF
	s_cmp_lt_u32 s82, s66                                      // 000000003F9C: BF0A4252
	s_cselect_b32 s20, s36, s60                                // 000000003FA0: 85143C24
	v_readlane_b32 s82, v3, 1                                  // 000000003FA4: D2890052 00010303
	s_and_b32 s82, s82, 0xffffff                               // 000000003FAC: 8652FF52 00FFFFFF
	s_cmp_lt_u32 s82, s66                                      // 000000003FB4: BF0A4252
	s_cselect_b32 s21, s36, s60                                // 000000003FB8: 85153C24
	s_mov_b64 exec, s[20:21]                                   // 000000003FBC: BEFE0114
	buffer_store_dword v44, v6, s[8:11], 0 offen               // 000000003FC0: E0701000 80022C06
	buffer_store_dword v46, v6, s[8:11], 0 offen offset:128    // 000000003FC8: E0701080 80022E06
	s_mov_b64 exec, s[36:37]                                   // 000000003FD0: BEFE0124
	v_mov_b32_e32 v6, v37                                      // 000000003FD4: 7E0C0325
	s_mov_b64 s[60:61], 0                                      // 000000003FD8: BEBC0180
	v_readlane_b32 s82, v3, 2                                  // 000000003FDC: D2890052 00010503
	s_and_b32 s82, s82, 0xffffff                               // 000000003FE4: 8652FF52 00FFFFFF
	s_cmp_lt_u32 s82, s66                                      // 000000003FEC: BF0A4252
	s_cselect_b32 s20, s36, s60                                // 000000003FF0: 85143C24
	v_readlane_b32 s82, v3, 3                                  // 000000003FF4: D2890052 00010703
	s_and_b32 s82, s82, 0xffffff                               // 000000003FFC: 8652FF52 00FFFFFF
	s_cmp_lt_u32 s82, s66                                      // 000000004004: BF0A4252
	s_cselect_b32 s21, s36, s60                                // 000000004008: 85153C24
	s_mov_b64 exec, s[20:21]                                   // 00000000400C: BEFE0114
	buffer_store_dword v45, v6, s[8:11], 0 offen               // 000000004010: E0701000 80022D06
	buffer_store_dword v47, v6, s[8:11], 0 offen offset:128    // 000000004018: E0701080 80022F06
	s_mov_b64 exec, s[36:37]                                   // 000000004020: BEFE0124
	v_mov_b32_e32 v6, v38                                      // 000000004024: 7E0C0326
	s_mov_b64 s[60:61], 0                                      // 000000004028: BEBC0180
	v_readlane_b32 s82, v3, 4                                  // 00000000402C: D2890052 00010903
	s_and_b32 s82, s82, 0xffffff                               // 000000004034: 8652FF52 00FFFFFF
	s_cmp_lt_u32 s82, s66                                      // 00000000403C: BF0A4252
	s_cselect_b32 s20, s36, s60                                // 000000004040: 85143C24
	v_readlane_b32 s82, v3, 5                                  // 000000004044: D2890052 00010B03
	s_and_b32 s82, s82, 0xffffff                               // 00000000404C: 8652FF52 00FFFFFF
	s_cmp_lt_u32 s82, s66                                      // 000000004054: BF0A4252
	s_cselect_b32 s21, s36, s60                                // 000000004058: 85153C24
	s_mov_b64 exec, s[20:21]                                   // 00000000405C: BEFE0114
	buffer_store_dword v48, v6, s[8:11], 0 offen               // 000000004060: E0701000 80023006
	buffer_store_dword v50, v6, s[8:11], 0 offen offset:128    // 000000004068: E0701080 80023206
	s_mov_b64 exec, s[36:37]                                   // 000000004070: BEFE0124
	v_mov_b32_e32 v6, v39                                      // 000000004074: 7E0C0327
	s_mov_b64 s[60:61], 0                                      // 000000004078: BEBC0180
	v_readlane_b32 s82, v3, 6                                  // 00000000407C: D2890052 00010D03
	s_and_b32 s82, s82, 0xffffff                               // 000000004084: 8652FF52 00FFFFFF
	s_cmp_lt_u32 s82, s66                                      // 00000000408C: BF0A4252
	s_cselect_b32 s20, s36, s60                                // 000000004090: 85143C24
	v_readlane_b32 s82, v3, 7                                  // 000000004094: D2890052 00010F03
	s_and_b32 s82, s82, 0xffffff                               // 00000000409C: 8652FF52 00FFFFFF
	s_cmp_lt_u32 s82, s66                                      // 0000000040A4: BF0A4252
	s_cselect_b32 s21, s36, s60                                // 0000000040A8: 85153C24
	s_mov_b64 exec, s[20:21]                                   // 0000000040AC: BEFE0114
	buffer_store_dword v49, v6, s[8:11], 0 offen               // 0000000040B0: E0701000 80023106
	buffer_store_dword v51, v6, s[8:11], 0 offen offset:128    // 0000000040B8: E0701080 80023306
	s_mov_b64 exec, s[36:37]                                   // 0000000040C0: BEFE0124
	s_branch label_0DD3                                        // 0000000040C4: BF82081E

00000000000040c8 <label_05B2>:
	ds_write_b64 v20, v[44:45]                                 // 0000000040C8: D89A0000 00002C14
	ds_write_b64 v20, v[48:49] offset:4352                     // 0000000040D0: D89A1100 00003014
	ds_write_b64 v20, v[52:53] offset:2176                     // 0000000040D8: D89A0880 00003414
	ds_write_b64 v20, v[56:57] offset:6528                     // 0000000040E0: D89A1980 00003814
	v_lshrrev_b32_e32 v4, 5, v0                                // 0000000040E8: 20080085
	v_xor_b32_e32 v5, 1, v4                                    // 0000000040EC: 2A0A0881
	s_mul_i32 s60, s65, 2                                      // 0000000040F0: 923C8241
	s_cmp_eq_u32 s88, 0                                        // 0000000040F4: BF068058
	s_cselect_b32 s61, 1, 4                                    // 0000000040F8: 853D8481
	s_mul_i32 s60, s61, s60                                    // 0000000040FC: 923C3C3D
	v_readlane_b32 s82, v3, 0                                  // 000000004100: D2890052 00010103
	s_lshr_b32 s61, s82, 24                                    // 000000004108: 8F3D9852
	s_and_b32 s82, s82, 0xffffff                               // 00000000410C: 8652FF52 00FFFFFF
	s_mul_i32 s82, s82, s71                                    // 000000004114: 92524752
	s_mul_i32 s61, s60, s61                                    // 000000004118: 923D3D3C
	s_add_u32 s82, s82, s61                                    // 00000000411C: 80523D52
	v_mul_lo_u32 v6, v5, s82                                   // 000000004120: D2850006 0000A505
	v_readlane_b32 s82, v3, 1                                  // 000000004128: D2890052 00010303
	s_lshr_b32 s61, s82, 24                                    // 000000004130: 8F3D9852
	s_and_b32 s82, s82, 0xffffff                               // 000000004134: 8652FF52 00FFFFFF
	s_mul_i32 s82, s82, s71                                    // 00000000413C: 92524752
	s_mul_i32 s61, s60, s61                                    // 000000004140: 923D3D3C
	s_add_u32 s82, s82, s61                                    // 000000004144: 80523D52
	v_mul_lo_u32 v7, v4, s82                                   // 000000004148: D2850007 0000A504
	v_add_u32_e32 v36, v6, v7                                  // 000000004150: 68480F06
	v_readlane_b32 s82, v3, 2                                  // 000000004154: D2890052 00010503
	s_lshr_b32 s61, s82, 24                                    // 00000000415C: 8F3D9852
	s_and_b32 s82, s82, 0xffffff                               // 000000004160: 8652FF52 00FFFFFF
	s_mul_i32 s82, s82, s71                                    // 000000004168: 92524752
	s_mul_i32 s61, s60, s61                                    // 00000000416C: 923D3D3C
	s_add_u32 s82, s82, s61                                    // 000000004170: 80523D52
	v_mul_lo_u32 v6, v5, s82                                   // 000000004174: D2850006 0000A505
	v_readlane_b32 s82, v3, 3                                  // 00000000417C: D2890052 00010703
	s_lshr_b32 s61, s82, 24                                    // 000000004184: 8F3D9852
	s_and_b32 s82, s82, 0xffffff                               // 000000004188: 8652FF52 00FFFFFF
	s_mul_i32 s82, s82, s71                                    // 000000004190: 92524752
	s_mul_i32 s61, s60, s61                                    // 000000004194: 923D3D3C
	s_add_u32 s82, s82, s61                                    // 000000004198: 80523D52
	v_mul_lo_u32 v7, v4, s82                                   // 00000000419C: D2850007 0000A504
	v_add_u32_e32 v37, v6, v7                                  // 0000000041A4: 684A0F06
	v_readlane_b32 s82, v3, 4                                  // 0000000041A8: D2890052 00010903
	s_lshr_b32 s61, s82, 24                                    // 0000000041B0: 8F3D9852
	s_and_b32 s82, s82, 0xffffff                               // 0000000041B4: 8652FF52 00FFFFFF
	s_mul_i32 s82, s82, s71                                    // 0000000041BC: 92524752
	s_mul_i32 s61, s60, s61                                    // 0000000041C0: 923D3D3C
	s_add_u32 s82, s82, s61                                    // 0000000041C4: 80523D52
	v_mul_lo_u32 v6, v5, s82                                   // 0000000041C8: D2850006 0000A505
	v_readlane_b32 s82, v3, 5                                  // 0000000041D0: D2890052 00010B03
	s_lshr_b32 s61, s82, 24                                    // 0000000041D8: 8F3D9852
	s_and_b32 s82, s82, 0xffffff                               // 0000000041DC: 8652FF52 00FFFFFF
	s_mul_i32 s82, s82, s71                                    // 0000000041E4: 92524752
	s_mul_i32 s61, s60, s61                                    // 0000000041E8: 923D3D3C
	s_add_u32 s82, s82, s61                                    // 0000000041EC: 80523D52
	v_mul_lo_u32 v7, v4, s82                                   // 0000000041F0: D2850007 0000A504
	v_add_u32_e32 v38, v6, v7                                  // 0000000041F8: 684C0F06
	v_readlane_b32 s82, v3, 6                                  // 0000000041FC: D2890052 00010D03
	s_lshr_b32 s61, s82, 24                                    // 000000004204: 8F3D9852
	s_and_b32 s82, s82, 0xffffff                               // 000000004208: 8652FF52 00FFFFFF
	s_mul_i32 s82, s82, s71                                    // 000000004210: 92524752
	s_mul_i32 s61, s60, s61                                    // 000000004214: 923D3D3C
	s_add_u32 s82, s82, s61                                    // 000000004218: 80523D52
	v_mul_lo_u32 v6, v5, s82                                   // 00000000421C: D2850006 0000A505
	v_readlane_b32 s82, v3, 7                                  // 000000004224: D2890052 00010F03
	s_lshr_b32 s61, s82, 24                                    // 00000000422C: 8F3D9852
	s_and_b32 s82, s82, 0xffffff                               // 000000004230: 8652FF52 00FFFFFF
	s_mul_i32 s82, s82, s71                                    // 000000004238: 92524752
	s_mul_i32 s61, s60, s61                                    // 00000000423C: 923D3D3C
	s_add_u32 s82, s82, s61                                    // 000000004240: 80523D52
	v_mul_lo_u32 v7, v4, s82                                   // 000000004244: D2850007 0000A504
	v_add_u32_e32 v39, v6, v7                                  // 00000000424C: 684E0F06
	v_and_b32_e32 v4, 31, v0                                   // 000000004250: 2608009F
	v_lshrrev_b32_e32 v4, 1, v4                                // 000000004254: 20080881
	s_cmp_eq_u32 s88, 0                                        // 000000004258: BF068058
	s_cselect_b32 s61, 2, 4                                    // 00000000425C: 853D8482
	v_mul_lo_u32 v4, v4, s61                                   // 000000004260: D2850004 00007B04
	v_and_b32_e64 v5, v0, 1                                    // 000000004268: D1130005 00010300
	v_add_u32_e32 v4, v4, v5                                   // 000000004270: 68080B04
	v_lshlrev_b32_e32 v4, 2, v4                                // 000000004274: 24080882
	v_add_u32_e32 v36, v36, v4                                 // 000000004278: 68480924
	v_add_u32_e32 v37, v37, v4                                 // 00000000427C: 684A0925
	v_add_u32_e32 v38, v38, v4                                 // 000000004280: 684C0926
	v_add_u32_e32 v39, v39, v4                                 // 000000004284: 684E0927
	s_waitcnt lgkmcnt(0)                                       // 000000004288: BF8CC07F
	s_barrier                                                  // 00000000428C: BF8A0000
	ds_read_b32 v44, v21                                       // 000000004290: D86C0000 2C000015
	ds_read_b32 v45, v21 offset:64                             // 000000004298: D86C0040 2D000015
	ds_read_b32 v48, v21 offset:2176                           // 0000000042A0: D86C0880 30000015
	ds_read_b32 v49, v21 offset:2240                           // 0000000042A8: D86C08C0 31000015
	ds_read_b32 v52, v21 offset:4352                           // 0000000042B0: D86C1100 34000015
	ds_read_b32 v53, v21 offset:4416                           // 0000000042B8: D86C1140 35000015
	ds_read_b32 v56, v21 offset:6528                           // 0000000042C0: D86C1980 38000015
	ds_read_b32 v57, v21 offset:6592                           // 0000000042C8: D86C19C0 39000015
	s_waitcnt lgkmcnt(0)                                       // 0000000042D0: BF8CC07F
	s_mov_b32 s36, -1                                          // 0000000042D4: BEA400C1
	s_mov_b32 s37, -1                                          // 0000000042D8: BEA500C1
	v_mov_b32_e32 v7, 0                                        // 0000000042DC: 7E0E0280
	s_mov_b64 exec, s[36:37]                                   // 0000000042E0: BEFE0124
	v_mov_b32_e32 v6, v36                                      // 0000000042E4: 7E0C0324
	s_mov_b64 s[60:61], 0                                      // 0000000042E8: BEBC0180
	v_readlane_b32 s82, v3, 0                                  // 0000000042EC: D2890052 00010103
	s_and_b32 s82, s82, 0xffffff                               // 0000000042F4: 8652FF52 00FFFFFF
	s_cmp_lt_u32 s82, s66                                      // 0000000042FC: BF0A4252
	s_cselect_b32 s20, s36, s60                                // 000000004300: 85143C24
	v_readlane_b32 s82, v3, 1                                  // 000000004304: D2890052 00010303
	s_and_b32 s82, s82, 0xffffff                               // 00000000430C: 8652FF52 00FFFFFF
	s_cmp_lt_u32 s82, s66                                      // 000000004314: BF0A4252
	s_cselect_b32 s21, s36, s60                                // 000000004318: 85153C24
	s_mov_b64 exec, s[20:21]                                   // 00000000431C: BEFE0114
	global_atomic_add_f32 v6, v44, s[8:9]                      // 000000004320: DD348000 00082C06
	global_atomic_add_f32 v6, v48, s[8:9] offset:256           // 000000004328: DD348100 00083006
	s_mov_b64 exec, s[36:37]                                   // 000000004330: BEFE0124
	v_mov_b32_e32 v6, v37                                      // 000000004334: 7E0C0325
	s_mov_b64 s[60:61], 0                                      // 000000004338: BEBC0180
	v_readlane_b32 s82, v3, 2                                  // 00000000433C: D2890052 00010503
	s_and_b32 s82, s82, 0xffffff                               // 000000004344: 8652FF52 00FFFFFF
	s_cmp_lt_u32 s82, s66                                      // 00000000434C: BF0A4252
	s_cselect_b32 s20, s36, s60                                // 000000004350: 85143C24
	v_readlane_b32 s82, v3, 3                                  // 000000004354: D2890052 00010703
	s_and_b32 s82, s82, 0xffffff                               // 00000000435C: 8652FF52 00FFFFFF
	s_cmp_lt_u32 s82, s66                                      // 000000004364: BF0A4252
	s_cselect_b32 s21, s36, s60                                // 000000004368: 85153C24
	s_mov_b64 exec, s[20:21]                                   // 00000000436C: BEFE0114
	global_atomic_add_f32 v6, v45, s[8:9]                      // 000000004370: DD348000 00082D06
	global_atomic_add_f32 v6, v49, s[8:9] offset:256           // 000000004378: DD348100 00083106
	s_mov_b64 exec, s[36:37]                                   // 000000004380: BEFE0124
	v_mov_b32_e32 v6, v38                                      // 000000004384: 7E0C0326
	s_mov_b64 s[60:61], 0                                      // 000000004388: BEBC0180
	v_readlane_b32 s82, v3, 4                                  // 00000000438C: D2890052 00010903
	s_and_b32 s82, s82, 0xffffff                               // 000000004394: 8652FF52 00FFFFFF
	s_cmp_lt_u32 s82, s66                                      // 00000000439C: BF0A4252
	s_cselect_b32 s20, s36, s60                                // 0000000043A0: 85143C24
	v_readlane_b32 s82, v3, 5                                  // 0000000043A4: D2890052 00010B03
	s_and_b32 s82, s82, 0xffffff                               // 0000000043AC: 8652FF52 00FFFFFF
	s_cmp_lt_u32 s82, s66                                      // 0000000043B4: BF0A4252
	s_cselect_b32 s21, s36, s60                                // 0000000043B8: 85153C24
	s_mov_b64 exec, s[20:21]                                   // 0000000043BC: BEFE0114
	global_atomic_add_f32 v6, v52, s[8:9]                      // 0000000043C0: DD348000 00083406
	global_atomic_add_f32 v6, v56, s[8:9] offset:256           // 0000000043C8: DD348100 00083806
	s_mov_b64 exec, s[36:37]                                   // 0000000043D0: BEFE0124
	v_mov_b32_e32 v6, v39                                      // 0000000043D4: 7E0C0327
	s_mov_b64 s[60:61], 0                                      // 0000000043D8: BEBC0180
	v_readlane_b32 s82, v3, 6                                  // 0000000043DC: D2890052 00010D03
	s_and_b32 s82, s82, 0xffffff                               // 0000000043E4: 8652FF52 00FFFFFF
	s_cmp_lt_u32 s82, s66                                      // 0000000043EC: BF0A4252
	s_cselect_b32 s20, s36, s60                                // 0000000043F0: 85143C24
	v_readlane_b32 s82, v3, 7                                  // 0000000043F4: D2890052 00010F03
	s_and_b32 s82, s82, 0xffffff                               // 0000000043FC: 8652FF52 00FFFFFF
	s_cmp_lt_u32 s82, s66                                      // 000000004404: BF0A4252
	s_cselect_b32 s21, s36, s60                                // 000000004408: 85153C24
	s_mov_b64 exec, s[20:21]                                   // 00000000440C: BEFE0114
	global_atomic_add_f32 v6, v53, s[8:9]                      // 000000004410: DD348000 00083506
	global_atomic_add_f32 v6, v57, s[8:9] offset:256           // 000000004418: DD348100 00083906
	s_mov_b64 exec, s[36:37]                                   // 000000004420: BEFE0124
	ds_write_b64 v20, v[46:47]                                 // 000000004424: D89A0000 00002E14
	ds_write_b64 v20, v[50:51] offset:4352                     // 00000000442C: D89A1100 00003214
	ds_write_b64 v20, v[54:55] offset:2176                     // 000000004434: D89A0880 00003614
	ds_write_b64 v20, v[58:59] offset:6528                     // 00000000443C: D89A1980 00003A14
	s_waitcnt lgkmcnt(0)                                       // 000000004444: BF8CC07F
	s_barrier                                                  // 000000004448: BF8A0000
	ds_read_b32 v46, v21                                       // 00000000444C: D86C0000 2E000015
	ds_read_b32 v47, v21 offset:64                             // 000000004454: D86C0040 2F000015
	ds_read_b32 v50, v21 offset:2176                           // 00000000445C: D86C0880 32000015
	ds_read_b32 v51, v21 offset:2240                           // 000000004464: D86C08C0 33000015
	ds_read_b32 v54, v21 offset:4352                           // 00000000446C: D86C1100 36000015
	ds_read_b32 v55, v21 offset:4416                           // 000000004474: D86C1140 37000015
	ds_read_b32 v58, v21 offset:6528                           // 00000000447C: D86C1980 3A000015
	ds_read_b32 v59, v21 offset:6592                           // 000000004484: D86C19C0 3B000015
	s_waitcnt lgkmcnt(0)                                       // 00000000448C: BF8CC07F
	v_mov_b32_e32 v7, 0                                        // 000000004490: 7E0E0280
	s_mov_b64 exec, s[36:37]                                   // 000000004494: BEFE0124
	v_mov_b32_e32 v6, v36                                      // 000000004498: 7E0C0324
	s_mov_b64 s[60:61], 0                                      // 00000000449C: BEBC0180
	v_readlane_b32 s82, v3, 0                                  // 0000000044A0: D2890052 00010103
	s_and_b32 s82, s82, 0xffffff                               // 0000000044A8: 8652FF52 00FFFFFF
	s_cmp_lt_u32 s82, s66                                      // 0000000044B0: BF0A4252
	s_cselect_b32 s20, s36, s60                                // 0000000044B4: 85143C24
	v_readlane_b32 s82, v3, 1                                  // 0000000044B8: D2890052 00010303
	s_and_b32 s82, s82, 0xffffff                               // 0000000044C0: 8652FF52 00FFFFFF
	s_cmp_lt_u32 s82, s66                                      // 0000000044C8: BF0A4252
	s_cselect_b32 s21, s36, s60                                // 0000000044CC: 85153C24
	s_mov_b64 exec, s[20:21]                                   // 0000000044D0: BEFE0114
	global_atomic_add_f32 v6, v46, s[8:9] offset:8             // 0000000044D4: DD348008 00082E06
	global_atomic_add_f32 v6, v50, s[8:9] offset:264           // 0000000044DC: DD348108 00083206
	s_mov_b64 exec, s[36:37]                                   // 0000000044E4: BEFE0124
	v_mov_b32_e32 v6, v37                                      // 0000000044E8: 7E0C0325
	s_mov_b64 s[60:61], 0                                      // 0000000044EC: BEBC0180
	v_readlane_b32 s82, v3, 2                                  // 0000000044F0: D2890052 00010503
	s_and_b32 s82, s82, 0xffffff                               // 0000000044F8: 8652FF52 00FFFFFF
	s_cmp_lt_u32 s82, s66                                      // 000000004500: BF0A4252
	s_cselect_b32 s20, s36, s60                                // 000000004504: 85143C24
	v_readlane_b32 s82, v3, 3                                  // 000000004508: D2890052 00010703
	s_and_b32 s82, s82, 0xffffff                               // 000000004510: 8652FF52 00FFFFFF
	s_cmp_lt_u32 s82, s66                                      // 000000004518: BF0A4252
	s_cselect_b32 s21, s36, s60                                // 00000000451C: 85153C24
	s_mov_b64 exec, s[20:21]                                   // 000000004520: BEFE0114
	global_atomic_add_f32 v6, v47, s[8:9] offset:8             // 000000004524: DD348008 00082F06
	global_atomic_add_f32 v6, v51, s[8:9] offset:264           // 00000000452C: DD348108 00083306
	s_mov_b64 exec, s[36:37]                                   // 000000004534: BEFE0124
	v_mov_b32_e32 v6, v38                                      // 000000004538: 7E0C0326
	s_mov_b64 s[60:61], 0                                      // 00000000453C: BEBC0180
	v_readlane_b32 s82, v3, 4                                  // 000000004540: D2890052 00010903
	s_and_b32 s82, s82, 0xffffff                               // 000000004548: 8652FF52 00FFFFFF
	s_cmp_lt_u32 s82, s66                                      // 000000004550: BF0A4252
	s_cselect_b32 s20, s36, s60                                // 000000004554: 85143C24
	v_readlane_b32 s82, v3, 5                                  // 000000004558: D2890052 00010B03
	s_and_b32 s82, s82, 0xffffff                               // 000000004560: 8652FF52 00FFFFFF
	s_cmp_lt_u32 s82, s66                                      // 000000004568: BF0A4252
	s_cselect_b32 s21, s36, s60                                // 00000000456C: 85153C24
	s_mov_b64 exec, s[20:21]                                   // 000000004570: BEFE0114
	global_atomic_add_f32 v6, v54, s[8:9] offset:8             // 000000004574: DD348008 00083606
	global_atomic_add_f32 v6, v58, s[8:9] offset:264           // 00000000457C: DD348108 00083A06
	s_mov_b64 exec, s[36:37]                                   // 000000004584: BEFE0124
	v_mov_b32_e32 v6, v39                                      // 000000004588: 7E0C0327
	s_mov_b64 s[60:61], 0                                      // 00000000458C: BEBC0180
	v_readlane_b32 s82, v3, 6                                  // 000000004590: D2890052 00010D03
	s_and_b32 s82, s82, 0xffffff                               // 000000004598: 8652FF52 00FFFFFF
	s_cmp_lt_u32 s82, s66                                      // 0000000045A0: BF0A4252
	s_cselect_b32 s20, s36, s60                                // 0000000045A4: 85143C24
	v_readlane_b32 s82, v3, 7                                  // 0000000045A8: D2890052 00010F03
	s_and_b32 s82, s82, 0xffffff                               // 0000000045B0: 8652FF52 00FFFFFF
	s_cmp_lt_u32 s82, s66                                      // 0000000045B8: BF0A4252
	s_cselect_b32 s21, s36, s60                                // 0000000045BC: 85153C24
	s_mov_b64 exec, s[20:21]                                   // 0000000045C0: BEFE0114
	global_atomic_add_f32 v6, v55, s[8:9] offset:8             // 0000000045C4: DD348008 00083706
	global_atomic_add_f32 v6, v59, s[8:9] offset:264           // 0000000045CC: DD348108 00083B06
	s_mov_b64 exec, s[36:37]                                   // 0000000045D4: BEFE0124
	ds_write_b64 v20, v[60:61]                                 // 0000000045D8: D89A0000 00003C14
	ds_write_b64 v20, v[64:65] offset:4352                     // 0000000045E0: D89A1100 00004014
	ds_write_b64 v20, v[68:69] offset:2176                     // 0000000045E8: D89A0880 00004414
	ds_write_b64 v20, v[72:73] offset:6528                     // 0000000045F0: D89A1980 00004814
	s_waitcnt lgkmcnt(0)                                       // 0000000045F8: BF8CC07F
	s_barrier                                                  // 0000000045FC: BF8A0000
	ds_read_b32 v60, v21                                       // 000000004600: D86C0000 3C000015
	ds_read_b32 v61, v21 offset:64                             // 000000004608: D86C0040 3D000015
	ds_read_b32 v64, v21 offset:2176                           // 000000004610: D86C0880 40000015
	ds_read_b32 v65, v21 offset:2240                           // 000000004618: D86C08C0 41000015
	ds_read_b32 v68, v21 offset:4352                           // 000000004620: D86C1100 44000015
	ds_read_b32 v69, v21 offset:4416                           // 000000004628: D86C1140 45000015
	ds_read_b32 v72, v21 offset:6528                           // 000000004630: D86C1980 48000015
	ds_read_b32 v73, v21 offset:6592                           // 000000004638: D86C19C0 49000015
	s_mul_i32 s60, s65, 4                                      // 000000004640: 923C8441
	s_add_u32 s8, s60, s8                                      // 000000004644: 8008083C
	s_addc_u32 s9, 0, s9                                       // 000000004648: 82090980
	s_waitcnt lgkmcnt(0)                                       // 00000000464C: BF8CC07F
	v_mov_b32_e32 v7, 0                                        // 000000004650: 7E0E0280
	s_mov_b64 exec, s[36:37]                                   // 000000004654: BEFE0124
	v_mov_b32_e32 v6, v36                                      // 000000004658: 7E0C0324
	s_mov_b64 s[60:61], 0                                      // 00000000465C: BEBC0180
	v_readlane_b32 s82, v3, 0                                  // 000000004660: D2890052 00010103
	s_and_b32 s82, s82, 0xffffff                               // 000000004668: 8652FF52 00FFFFFF
	s_cmp_lt_u32 s82, s66                                      // 000000004670: BF0A4252
	s_cselect_b32 s20, s36, s60                                // 000000004674: 85143C24
	v_readlane_b32 s82, v3, 1                                  // 000000004678: D2890052 00010303
	s_and_b32 s82, s82, 0xffffff                               // 000000004680: 8652FF52 00FFFFFF
	s_cmp_lt_u32 s82, s66                                      // 000000004688: BF0A4252
	s_cselect_b32 s21, s36, s60                                // 00000000468C: 85153C24
	s_mov_b64 exec, s[20:21]                                   // 000000004690: BEFE0114
	global_atomic_add_f32 v6, v60, s[8:9]                      // 000000004694: DD348000 00083C06
	global_atomic_add_f32 v6, v64, s[8:9] offset:256           // 00000000469C: DD348100 00084006
	s_mov_b64 exec, s[36:37]                                   // 0000000046A4: BEFE0124
	v_mov_b32_e32 v6, v37                                      // 0000000046A8: 7E0C0325
	s_mov_b64 s[60:61], 0                                      // 0000000046AC: BEBC0180
	v_readlane_b32 s82, v3, 2                                  // 0000000046B0: D2890052 00010503
	s_and_b32 s82, s82, 0xffffff                               // 0000000046B8: 8652FF52 00FFFFFF
	s_cmp_lt_u32 s82, s66                                      // 0000000046C0: BF0A4252
	s_cselect_b32 s20, s36, s60                                // 0000000046C4: 85143C24
	v_readlane_b32 s82, v3, 3                                  // 0000000046C8: D2890052 00010703
	s_and_b32 s82, s82, 0xffffff                               // 0000000046D0: 8652FF52 00FFFFFF
	s_cmp_lt_u32 s82, s66                                      // 0000000046D8: BF0A4252
	s_cselect_b32 s21, s36, s60                                // 0000000046DC: 85153C24
	s_mov_b64 exec, s[20:21]                                   // 0000000046E0: BEFE0114
	global_atomic_add_f32 v6, v61, s[8:9]                      // 0000000046E4: DD348000 00083D06
	global_atomic_add_f32 v6, v65, s[8:9] offset:256           // 0000000046EC: DD348100 00084106
	s_mov_b64 exec, s[36:37]                                   // 0000000046F4: BEFE0124
	v_mov_b32_e32 v6, v38                                      // 0000000046F8: 7E0C0326
	s_mov_b64 s[60:61], 0                                      // 0000000046FC: BEBC0180
	v_readlane_b32 s82, v3, 4                                  // 000000004700: D2890052 00010903
	s_and_b32 s82, s82, 0xffffff                               // 000000004708: 8652FF52 00FFFFFF
	s_cmp_lt_u32 s82, s66                                      // 000000004710: BF0A4252
	s_cselect_b32 s20, s36, s60                                // 000000004714: 85143C24
	v_readlane_b32 s82, v3, 5                                  // 000000004718: D2890052 00010B03
	s_and_b32 s82, s82, 0xffffff                               // 000000004720: 8652FF52 00FFFFFF
	s_cmp_lt_u32 s82, s66                                      // 000000004728: BF0A4252
	s_cselect_b32 s21, s36, s60                                // 00000000472C: 85153C24
	s_mov_b64 exec, s[20:21]                                   // 000000004730: BEFE0114
	global_atomic_add_f32 v6, v68, s[8:9]                      // 000000004734: DD348000 00084406
	global_atomic_add_f32 v6, v72, s[8:9] offset:256           // 00000000473C: DD348100 00084806
	s_mov_b64 exec, s[36:37]                                   // 000000004744: BEFE0124
	v_mov_b32_e32 v6, v39                                      // 000000004748: 7E0C0327
	s_mov_b64 s[60:61], 0                                      // 00000000474C: BEBC0180
	v_readlane_b32 s82, v3, 6                                  // 000000004750: D2890052 00010D03
	s_and_b32 s82, s82, 0xffffff                               // 000000004758: 8652FF52 00FFFFFF
	s_cmp_lt_u32 s82, s66                                      // 000000004760: BF0A4252
	s_cselect_b32 s20, s36, s60                                // 000000004764: 85143C24
	v_readlane_b32 s82, v3, 7                                  // 000000004768: D2890052 00010F03
	s_and_b32 s82, s82, 0xffffff                               // 000000004770: 8652FF52 00FFFFFF
	s_cmp_lt_u32 s82, s66                                      // 000000004778: BF0A4252
	s_cselect_b32 s21, s36, s60                                // 00000000477C: 85153C24
	s_mov_b64 exec, s[20:21]                                   // 000000004780: BEFE0114
	global_atomic_add_f32 v6, v69, s[8:9]                      // 000000004784: DD348000 00084506
	global_atomic_add_f32 v6, v73, s[8:9] offset:256           // 00000000478C: DD348100 00084906
	s_mov_b64 exec, s[36:37]                                   // 000000004794: BEFE0124
	ds_write_b64 v20, v[62:63]                                 // 000000004798: D89A0000 00003E14
	ds_write_b64 v20, v[66:67] offset:4352                     // 0000000047A0: D89A1100 00004214
	ds_write_b64 v20, v[70:71] offset:2176                     // 0000000047A8: D89A0880 00004614
	ds_write_b64 v20, v[74:75] offset:6528                     // 0000000047B0: D89A1980 00004A14
	s_waitcnt lgkmcnt(0)                                       // 0000000047B8: BF8CC07F
	s_barrier                                                  // 0000000047BC: BF8A0000
	ds_read_b32 v62, v21                                       // 0000000047C0: D86C0000 3E000015
	ds_read_b32 v63, v21 offset:64                             // 0000000047C8: D86C0040 3F000015
	ds_read_b32 v66, v21 offset:2176                           // 0000000047D0: D86C0880 42000015
	ds_read_b32 v67, v21 offset:2240                           // 0000000047D8: D86C08C0 43000015
	ds_read_b32 v70, v21 offset:4352                           // 0000000047E0: D86C1100 46000015
	ds_read_b32 v71, v21 offset:4416                           // 0000000047E8: D86C1140 47000015
	ds_read_b32 v74, v21 offset:6528                           // 0000000047F0: D86C1980 4A000015
	ds_read_b32 v75, v21 offset:6592                           // 0000000047F8: D86C19C0 4B000015
	s_waitcnt lgkmcnt(0)                                       // 000000004800: BF8CC07F
	v_mov_b32_e32 v7, 0                                        // 000000004804: 7E0E0280
	s_mov_b64 exec, s[36:37]                                   // 000000004808: BEFE0124
	v_mov_b32_e32 v6, v36                                      // 00000000480C: 7E0C0324
	s_mov_b64 s[60:61], 0                                      // 000000004810: BEBC0180
	v_readlane_b32 s82, v3, 0                                  // 000000004814: D2890052 00010103
	s_and_b32 s82, s82, 0xffffff                               // 00000000481C: 8652FF52 00FFFFFF
	s_cmp_lt_u32 s82, s66                                      // 000000004824: BF0A4252
	s_cselect_b32 s20, s36, s60                                // 000000004828: 85143C24
	v_readlane_b32 s82, v3, 1                                  // 00000000482C: D2890052 00010303
	s_and_b32 s82, s82, 0xffffff                               // 000000004834: 8652FF52 00FFFFFF
	s_cmp_lt_u32 s82, s66                                      // 00000000483C: BF0A4252
	s_cselect_b32 s21, s36, s60                                // 000000004840: 85153C24
	s_mov_b64 exec, s[20:21]                                   // 000000004844: BEFE0114
	global_atomic_add_f32 v6, v62, s[8:9] offset:8             // 000000004848: DD348008 00083E06
	global_atomic_add_f32 v6, v66, s[8:9] offset:264           // 000000004850: DD348108 00084206
	s_mov_b64 exec, s[36:37]                                   // 000000004858: BEFE0124
	v_mov_b32_e32 v6, v37                                      // 00000000485C: 7E0C0325
	s_mov_b64 s[60:61], 0                                      // 000000004860: BEBC0180
	v_readlane_b32 s82, v3, 2                                  // 000000004864: D2890052 00010503
	s_and_b32 s82, s82, 0xffffff                               // 00000000486C: 8652FF52 00FFFFFF
	s_cmp_lt_u32 s82, s66                                      // 000000004874: BF0A4252
	s_cselect_b32 s20, s36, s60                                // 000000004878: 85143C24
	v_readlane_b32 s82, v3, 3                                  // 00000000487C: D2890052 00010703
	s_and_b32 s82, s82, 0xffffff                               // 000000004884: 8652FF52 00FFFFFF
	s_cmp_lt_u32 s82, s66                                      // 00000000488C: BF0A4252
	s_cselect_b32 s21, s36, s60                                // 000000004890: 85153C24
	s_mov_b64 exec, s[20:21]                                   // 000000004894: BEFE0114
	global_atomic_add_f32 v6, v63, s[8:9] offset:8             // 000000004898: DD348008 00083F06
	global_atomic_add_f32 v6, v67, s[8:9] offset:264           // 0000000048A0: DD348108 00084306
	s_mov_b64 exec, s[36:37]                                   // 0000000048A8: BEFE0124
	v_mov_b32_e32 v6, v38                                      // 0000000048AC: 7E0C0326
	s_mov_b64 s[60:61], 0                                      // 0000000048B0: BEBC0180
	v_readlane_b32 s82, v3, 4                                  // 0000000048B4: D2890052 00010903
	s_and_b32 s82, s82, 0xffffff                               // 0000000048BC: 8652FF52 00FFFFFF
	s_cmp_lt_u32 s82, s66                                      // 0000000048C4: BF0A4252
	s_cselect_b32 s20, s36, s60                                // 0000000048C8: 85143C24
	v_readlane_b32 s82, v3, 5                                  // 0000000048CC: D2890052 00010B03
	s_and_b32 s82, s82, 0xffffff                               // 0000000048D4: 8652FF52 00FFFFFF
	s_cmp_lt_u32 s82, s66                                      // 0000000048DC: BF0A4252
	s_cselect_b32 s21, s36, s60                                // 0000000048E0: 85153C24
	s_mov_b64 exec, s[20:21]                                   // 0000000048E4: BEFE0114
	global_atomic_add_f32 v6, v70, s[8:9] offset:8             // 0000000048E8: DD348008 00084606
	global_atomic_add_f32 v6, v74, s[8:9] offset:264           // 0000000048F0: DD348108 00084A06
	s_mov_b64 exec, s[36:37]                                   // 0000000048F8: BEFE0124
	v_mov_b32_e32 v6, v39                                      // 0000000048FC: 7E0C0327
	s_mov_b64 s[60:61], 0                                      // 000000004900: BEBC0180
	v_readlane_b32 s82, v3, 6                                  // 000000004904: D2890052 00010D03
	s_and_b32 s82, s82, 0xffffff                               // 00000000490C: 8652FF52 00FFFFFF
	s_cmp_lt_u32 s82, s66                                      // 000000004914: BF0A4252
	s_cselect_b32 s20, s36, s60                                // 000000004918: 85143C24
	v_readlane_b32 s82, v3, 7                                  // 00000000491C: D2890052 00010F03
	s_and_b32 s82, s82, 0xffffff                               // 000000004924: 8652FF52 00FFFFFF
	s_cmp_lt_u32 s82, s66                                      // 00000000492C: BF0A4252
	s_cselect_b32 s21, s36, s60                                // 000000004930: 85153C24
	s_mov_b64 exec, s[20:21]                                   // 000000004934: BEFE0114
	global_atomic_add_f32 v6, v71, s[8:9] offset:8             // 000000004938: DD348008 00084706
	global_atomic_add_f32 v6, v75, s[8:9] offset:264           // 000000004940: DD348108 00084B06
	s_mov_b64 exec, s[36:37]                                   // 000000004948: BEFE0124
	s_branch label_0DD3                                        // 00000000494C: BF8205FC

0000000000004950 <label_07D7>:
	s_waitcnt vmcnt(2) lgkmcnt(0)                              // 000000004950: BF8C0072
	s_barrier                                                  // 000000004954: BF8A0000
	v_mfma_f32_16x16x32_fp8_fp8 v[44:47], a[32:33], a[0:1], v[44:47]// 000000004958: D3F3002C 1CB20120
	buffer_load_dwordx4 a[48:51], v40, s[84:87], 0 offen       // 000000004960: E05C1000 80953028
	v_mfma_f32_16x16x32_fp8_fp8 v[44:47], a[34:35], a[2:3], v[44:47]// 000000004968: D3F3002C 1CB20522
	v_mfma_f32_16x16x32_fp8_fp8 v[44:47], a[36:37], a[4:5], v[44:47]// 000000004970: D3F3002C 1CB20924
	v_mfma_f32_16x16x32_fp8_fp8 v[44:47], a[38:39], a[6:7], v[44:47]// 000000004978: D3F3002C 1CB20D26
	v_mfma_f32_16x16x32_fp8_fp8 v[48:51], a[32:33], a[8:9], v[48:51]// 000000004980: D3F30030 1CC21120
	buffer_load_dwordx4 a[52:55], v40, s[84:87], 0 offen offset:1024// 000000004988: E05C1400 80953428
	v_mfma_f32_16x16x32_fp8_fp8 v[48:51], a[34:35], a[10:11], v[48:51]// 000000004990: D3F30030 1CC21522
	v_mfma_f32_16x16x32_fp8_fp8 v[48:51], a[36:37], a[12:13], v[48:51]// 000000004998: D3F30030 1CC21924
	v_mfma_f32_16x16x32_fp8_fp8 v[48:51], a[38:39], a[14:15], v[48:51]// 0000000049A0: D3F30030 1CC21D26
	s_waitcnt vmcnt(2)                                         // 0000000049A8: BF8C0F72
	v_mfma_f32_16x16x32_fp8_fp8 v[52:55], a[40:41], a[0:1], v[52:55]// 0000000049AC: D3F30034 1CD20128
	buffer_load_dwordx4 a[56:59], v41, s[84:87], 0 offen       // 0000000049B4: E05C1000 80953829
	v_mfma_f32_16x16x32_fp8_fp8 v[52:55], a[42:43], a[2:3], v[52:55]// 0000000049BC: D3F30034 1CD2052A
	v_mfma_f32_16x16x32_fp8_fp8 v[52:55], a[44:45], a[4:5], v[52:55]// 0000000049C4: D3F30034 1CD2092C
	v_mfma_f32_16x16x32_fp8_fp8 v[52:55], a[46:47], a[6:7], v[52:55]// 0000000049CC: D3F30034 1CD20D2E
	v_mfma_f32_16x16x32_fp8_fp8 v[56:59], a[40:41], a[8:9], v[56:59]// 0000000049D4: D3F30038 1CE21128
	buffer_load_dwordx4 a[60:63], v41, s[84:87], 0 offen offset:1024// 0000000049DC: E05C1400 80953C29
	buffer_load_dword v36, s[20:23], 0 offen lds               // 0000000049E4: E0511000 80050024
	s_add_u32 m0, 0x100, s48                                   // 0000000049EC: 807C30FF 00000100
	v_mfma_f32_16x16x32_fp8_fp8 v[56:59], a[42:43], a[10:11], v[56:59]// 0000000049F4: D3F30038 1CE2152A
	s_add_u32 s60, 0x80, s80                                   // 0000000049FC: 803C50FF 00000080
	s_cmp_lt_u32 s60, s81                                      // 000000004A04: BF0A513C
	s_cselect_b32 s83, s83, 0                                  // 000000004A08: 85538053
	v_mfma_f32_16x16x32_fp8_fp8 v[56:59], a[44:45], a[12:13], v[56:59]// 000000004A0C: D3F30038 1CE2192C
	buffer_load_dword v37, s[20:23], 0 offen lds               // 000000004A14: E0511000 80050025
	s_add_u32 m0, 0x200, s48                                   // 000000004A1C: 807C30FF 00000200
	v_mfma_f32_16x16x32_fp8_fp8 v[56:59], a[46:47], a[14:15], v[56:59]// 000000004A24: D3F30038 1CE21D2E
	buffer_load_dword v38, s[20:23], 0 offen lds               // 000000004A2C: E0511000 80050026
	s_add_u32 m0, 0x300, s48                                   // 000000004A34: 807C30FF 00000300
	buffer_load_dword v39, s[20:23], 0 offen lds               // 000000004A3C: E0511000 80050027
	s_add_u32 m0, 0, s49                                       // 000000004A44: 807C3180
	s_waitcnt vmcnt(4)                                         // 000000004A48: BF8C0F74
	v_mfma_f32_16x16x32_fp8_fp8 v[60:63], a[48:49], a[0:1], v[60:63]// 000000004A4C: D3F3003C 1CF20130
	buffer_load_dwordx4 a[32:35], v40, s[24:27], 0 offen       // 000000004A54: E05C1000 80862028
	v_mfma_f32_16x16x32_fp8_fp8 v[60:63], a[50:51], a[2:3], v[60:63]// 000000004A5C: D3F3003C 1CF20532
	v_mfma_f32_16x16x32_fp8_fp8 v[60:63], a[52:53], a[4:5], v[60:63]// 000000004A64: D3F3003C 1CF20934
	ds_read_b128 a[16:19], v2 offset:4224                      // 000000004A6C: DBFE1080 10000002
	ds_read_b128 a[20:23], v2 offset:4288                      // 000000004A74: DBFE10C0 14000002
	v_mfma_f32_16x16x32_fp8_fp8 v[60:63], a[54:55], a[6:7], v[60:63]// 000000004A7C: D3F3003C 1CF20D36
	v_mfma_f32_16x16x32_fp8_fp8 v[68:71], a[56:57], a[0:1], v[68:71]// 000000004A84: D3F30044 1D120138
	buffer_load_dwordx4 a[36:39], v40, s[24:27], 0 offen offset:1024// 000000004A8C: E05C1400 80862428
	v_mfma_f32_16x16x32_fp8_fp8 v[68:71], a[58:59], a[2:3], v[68:71]// 000000004A94: D3F30044 1D12053A
	v_mfma_f32_16x16x32_fp8_fp8 v[68:71], a[60:61], a[4:5], v[68:71]// 000000004A9C: D3F30044 1D12093C
	ds_read_b128 a[24:27], v2 offset:4736                      // 000000004AA4: DBFE1280 18000002
	ds_read_b128 a[28:31], v2 offset:4800                      // 000000004AAC: DBFE12C0 1C000002
	v_mfma_f32_16x16x32_fp8_fp8 v[68:71], a[62:63], a[6:7], v[68:71]// 000000004AB4: D3F30044 1D120D3E
	v_mfma_f32_16x16x32_fp8_fp8 v[64:67], a[48:49], a[8:9], v[64:67]// 000000004ABC: D3F30040 1D021130
	buffer_load_dwordx4 a[40:43], v41, s[24:27], 0 offen       // 000000004AC4: E05C1000 80862829
	v_mfma_f32_16x16x32_fp8_fp8 v[64:67], a[50:51], a[10:11], v[64:67]// 000000004ACC: D3F30040 1D021532
	v_mfma_f32_16x16x32_fp8_fp8 v[64:67], a[52:53], a[12:13], v[64:67]// 000000004AD4: D3F30040 1D021934
	s_add_u32 s60, 0x180, s80                                  // 000000004ADC: 803C50FF 00000180
	s_cmp_lt_u32 s60, s81                                      // 000000004AE4: BF0A513C
	s_cselect_b32 s57, s57, 0                                  // 000000004AE8: 85398039
	v_mfma_f32_16x16x32_fp8_fp8 v[64:67], a[54:55], a[14:15], v[64:67]// 000000004AEC: D3F30040 1D021D36
	s_add_u32 s60, 0x100, s80                                  // 000000004AF4: 803C50FF 00000100
	s_cmp_lt_u32 s60, s81                                      // 000000004AFC: BF0A513C
	s_cselect_b32 s58, s58, 0                                  // 000000004B00: 853A803A
	v_mfma_f32_16x16x32_fp8_fp8 v[72:75], a[56:57], a[8:9], v[72:75]// 000000004B04: D3F30048 1D221138
	buffer_load_dwordx4 a[44:47], v41, s[24:27], 0 offen offset:1024// 000000004B0C: E05C1400 80862C29
	s_add_u32 s24, s58, s24                                    // 000000004B14: 8018183A
	s_addc_u32 s25, 0, s25                                     // 000000004B18: 82191980
	v_mfma_f32_16x16x32_fp8_fp8 v[72:75], a[58:59], a[10:11], v[72:75]// 000000004B1C: D3F30048 1D22153A
	s_add_u32 s20, s57, s20                                    // 000000004B24: 80141439
	s_addc_u32 s21, 0, s21                                     // 000000004B28: 82151580
	v_mfma_f32_16x16x32_fp8_fp8 v[72:75], a[60:61], a[12:13], v[72:75]// 000000004B2C: D3F30048 1D22193C
	s_add_u32 s84, s83, s84                                    // 000000004B34: 80545453
	s_addc_u32 s85, 0, s85                                     // 000000004B38: 82555580
	v_mfma_f32_16x16x32_fp8_fp8 v[72:75], a[62:63], a[14:15], v[72:75]// 000000004B3C: D3F30048 1D221D3E
	s_addk_i32 s80, 0x80                                       // 000000004B44: B7500080
	s_cmp_lt_i32 s80, s81                                      // 000000004B48: BF045150
	s_cbranch_scc0 label_08D8                                  // 000000004B4C: BF840081
	s_waitcnt vmcnt(2) lgkmcnt(0)                              // 000000004B50: BF8C0072
	s_barrier                                                  // 000000004B54: BF8A0000
	v_mfma_f32_16x16x32_fp8_fp8 v[44:47], a[32:33], a[16:17], v[44:47]// 000000004B58: D3F3002C 1CB22120
	buffer_load_dwordx4 a[48:51], v40, s[84:87], 0 offen       // 000000004B60: E05C1000 80953028
	v_mfma_f32_16x16x32_fp8_fp8 v[44:47], a[34:35], a[18:19], v[44:47]// 000000004B68: D3F3002C 1CB22522
	v_mfma_f32_16x16x32_fp8_fp8 v[44:47], a[36:37], a[20:21], v[44:47]// 000000004B70: D3F3002C 1CB22924
	v_mfma_f32_16x16x32_fp8_fp8 v[44:47], a[38:39], a[22:23], v[44:47]// 000000004B78: D3F3002C 1CB22D26
	v_mfma_f32_16x16x32_fp8_fp8 v[48:51], a[32:33], a[24:25], v[48:51]// 000000004B80: D3F30030 1CC23120
	buffer_load_dwordx4 a[52:55], v40, s[84:87], 0 offen offset:1024// 000000004B88: E05C1400 80953428
	v_mfma_f32_16x16x32_fp8_fp8 v[48:51], a[34:35], a[26:27], v[48:51]// 000000004B90: D3F30030 1CC23522
	v_mfma_f32_16x16x32_fp8_fp8 v[48:51], a[36:37], a[28:29], v[48:51]// 000000004B98: D3F30030 1CC23924
	v_mfma_f32_16x16x32_fp8_fp8 v[48:51], a[38:39], a[30:31], v[48:51]// 000000004BA0: D3F30030 1CC23D26
	s_waitcnt vmcnt(2)                                         // 000000004BA8: BF8C0F72
	v_mfma_f32_16x16x32_fp8_fp8 v[52:55], a[40:41], a[16:17], v[52:55]// 000000004BAC: D3F30034 1CD22128
	buffer_load_dwordx4 a[56:59], v41, s[84:87], 0 offen       // 000000004BB4: E05C1000 80953829
	v_mfma_f32_16x16x32_fp8_fp8 v[52:55], a[42:43], a[18:19], v[52:55]// 000000004BBC: D3F30034 1CD2252A
	v_mfma_f32_16x16x32_fp8_fp8 v[52:55], a[44:45], a[20:21], v[52:55]// 000000004BC4: D3F30034 1CD2292C
	v_mfma_f32_16x16x32_fp8_fp8 v[52:55], a[46:47], a[22:23], v[52:55]// 000000004BCC: D3F30034 1CD22D2E
	v_mfma_f32_16x16x32_fp8_fp8 v[56:59], a[40:41], a[24:25], v[56:59]// 000000004BD4: D3F30038 1CE23128
	buffer_load_dwordx4 a[60:63], v41, s[84:87], 0 offen offset:1024// 000000004BDC: E05C1400 80953C29
	buffer_load_dword v36, s[20:23], 0 offen lds               // 000000004BE4: E0511000 80050024
	s_add_u32 m0, 0x100, s49                                   // 000000004BEC: 807C31FF 00000100
	v_mfma_f32_16x16x32_fp8_fp8 v[56:59], a[42:43], a[26:27], v[56:59]// 000000004BF4: D3F30038 1CE2352A
	s_add_u32 s60, 0x80, s80                                   // 000000004BFC: 803C50FF 00000080
	s_cmp_lt_u32 s60, s81                                      // 000000004C04: BF0A513C
	s_cselect_b32 s83, s83, 0                                  // 000000004C08: 85538053
	v_mfma_f32_16x16x32_fp8_fp8 v[56:59], a[44:45], a[28:29], v[56:59]// 000000004C0C: D3F30038 1CE2392C
	buffer_load_dword v37, s[20:23], 0 offen lds               // 000000004C14: E0511000 80050025
	s_add_u32 m0, 0x200, s49                                   // 000000004C1C: 807C31FF 00000200
	v_mfma_f32_16x16x32_fp8_fp8 v[56:59], a[46:47], a[30:31], v[56:59]// 000000004C24: D3F30038 1CE23D2E
	buffer_load_dword v38, s[20:23], 0 offen lds               // 000000004C2C: E0511000 80050026
	s_add_u32 m0, 0x300, s49                                   // 000000004C34: 807C31FF 00000300
	buffer_load_dword v39, s[20:23], 0 offen lds               // 000000004C3C: E0511000 80050027
	s_add_u32 m0, 0, s48                                       // 000000004C44: 807C3080
	s_waitcnt vmcnt(4)                                         // 000000004C48: BF8C0F74
	v_mfma_f32_16x16x32_fp8_fp8 v[60:63], a[48:49], a[16:17], v[60:63]// 000000004C4C: D3F3003C 1CF22130
	buffer_load_dwordx4 a[32:35], v40, s[24:27], 0 offen       // 000000004C54: E05C1000 80862028
	v_mfma_f32_16x16x32_fp8_fp8 v[60:63], a[50:51], a[18:19], v[60:63]// 000000004C5C: D3F3003C 1CF22532
	v_mfma_f32_16x16x32_fp8_fp8 v[60:63], a[52:53], a[20:21], v[60:63]// 000000004C64: D3F3003C 1CF22934
	ds_read_b128 a[0:3], v2                                    // 000000004C6C: DBFE0000 00000002
	ds_read_b128 a[4:7], v2 offset:64                          // 000000004C74: DBFE0040 04000002
	v_mfma_f32_16x16x32_fp8_fp8 v[60:63], a[54:55], a[22:23], v[60:63]// 000000004C7C: D3F3003C 1CF22D36
	v_mfma_f32_16x16x32_fp8_fp8 v[68:71], a[56:57], a[16:17], v[68:71]// 000000004C84: D3F30044 1D122138
	buffer_load_dwordx4 a[36:39], v40, s[24:27], 0 offen offset:1024// 000000004C8C: E05C1400 80862428
	v_mfma_f32_16x16x32_fp8_fp8 v[68:71], a[58:59], a[18:19], v[68:71]// 000000004C94: D3F30044 1D12253A
	v_mfma_f32_16x16x32_fp8_fp8 v[68:71], a[60:61], a[20:21], v[68:71]// 000000004C9C: D3F30044 1D12293C
	ds_read_b128 a[8:11], v2 offset:512                        // 000000004CA4: DBFE0200 08000002
	ds_read_b128 a[12:15], v2 offset:576                       // 000000004CAC: DBFE0240 0C000002
	v_mfma_f32_16x16x32_fp8_fp8 v[68:71], a[62:63], a[22:23], v[68:71]// 000000004CB4: D3F30044 1D122D3E
	v_mfma_f32_16x16x32_fp8_fp8 v[64:67], a[48:49], a[24:25], v[64:67]// 000000004CBC: D3F30040 1D023130
	buffer_load_dwordx4 a[40:43], v41, s[24:27], 0 offen       // 000000004CC4: E05C1000 80862829
	v_mfma_f32_16x16x32_fp8_fp8 v[64:67], a[50:51], a[26:27], v[64:67]// 000000004CCC: D3F30040 1D023532
	v_mfma_f32_16x16x32_fp8_fp8 v[64:67], a[52:53], a[28:29], v[64:67]// 000000004CD4: D3F30040 1D023934
	s_add_u32 s60, 0x180, s80                                  // 000000004CDC: 803C50FF 00000180
	s_cmp_lt_u32 s60, s81                                      // 000000004CE4: BF0A513C
	s_cselect_b32 s57, s57, 0                                  // 000000004CE8: 85398039
	v_mfma_f32_16x16x32_fp8_fp8 v[64:67], a[54:55], a[30:31], v[64:67]// 000000004CEC: D3F30040 1D023D36
	s_add_u32 s60, 0x100, s80                                  // 000000004CF4: 803C50FF 00000100
	s_cmp_lt_u32 s60, s81                                      // 000000004CFC: BF0A513C
	s_cselect_b32 s58, s58, 0                                  // 000000004D00: 853A803A
	v_mfma_f32_16x16x32_fp8_fp8 v[72:75], a[56:57], a[24:25], v[72:75]// 000000004D04: D3F30048 1D223138
	buffer_load_dwordx4 a[44:47], v41, s[24:27], 0 offen offset:1024// 000000004D0C: E05C1400 80862C29
	s_add_u32 s24, s58, s24                                    // 000000004D14: 8018183A
	s_addc_u32 s25, 0, s25                                     // 000000004D18: 82191980
	v_mfma_f32_16x16x32_fp8_fp8 v[72:75], a[58:59], a[26:27], v[72:75]// 000000004D1C: D3F30048 1D22353A
	s_add_u32 s20, s57, s20                                    // 000000004D24: 80141439
	s_addc_u32 s21, 0, s21                                     // 000000004D28: 82151580
	v_mfma_f32_16x16x32_fp8_fp8 v[72:75], a[60:61], a[28:29], v[72:75]// 000000004D2C: D3F30048 1D22393C
	s_add_u32 s84, s83, s84                                    // 000000004D34: 80545453
	s_addc_u32 s85, 0, s85                                     // 000000004D38: 82555580
	v_mfma_f32_16x16x32_fp8_fp8 v[72:75], a[62:63], a[30:31], v[72:75]// 000000004D3C: D3F30048 1D223D3E
	s_addk_i32 s80, 0x80                                       // 000000004D44: B7500080
	s_cmp_lt_i32 s80, s81                                      // 000000004D48: BF045150
	s_cbranch_scc0 label_08D8                                  // 000000004D4C: BF840001
	s_branch label_07D7                                        // 000000004D50: BF82FEFF

0000000000004d54 <label_08D8>:
	v_mul_f32_dpp v44, v24, v44 row_newbcast:0 row_mask:0xf bank_mask:0xf// 000000004D54: 0A5858FA FF015018
	v_mul_f32_dpp v45, v24, v45 row_newbcast:1 row_mask:0xf bank_mask:0xf// 000000004D5C: 0A5A5AFA FF015118
	v_mul_f32_dpp v46, v24, v46 row_newbcast:2 row_mask:0xf bank_mask:0xf// 000000004D64: 0A5C5CFA FF015218
	v_mul_f32_dpp v47, v24, v47 row_newbcast:3 row_mask:0xf bank_mask:0xf// 000000004D6C: 0A5E5EFA FF015318
	v_mul_f32_dpp v48, v24, v48 row_newbcast:0 row_mask:0xf bank_mask:0xf// 000000004D74: 0A6060FA FF015018
	v_mul_f32_dpp v49, v24, v49 row_newbcast:1 row_mask:0xf bank_mask:0xf// 000000004D7C: 0A6262FA FF015118
	v_mul_f32_dpp v50, v24, v50 row_newbcast:2 row_mask:0xf bank_mask:0xf// 000000004D84: 0A6464FA FF015218
	v_mul_f32_dpp v51, v24, v51 row_newbcast:3 row_mask:0xf bank_mask:0xf// 000000004D8C: 0A6666FA FF015318
	v_mul_f32_dpp v52, v24, v52 row_newbcast:4 row_mask:0xf bank_mask:0xf// 000000004D94: 0A6868FA FF015418
	v_mul_f32_dpp v53, v24, v53 row_newbcast:5 row_mask:0xf bank_mask:0xf// 000000004D9C: 0A6A6AFA FF015518
	v_mul_f32_dpp v54, v24, v54 row_newbcast:6 row_mask:0xf bank_mask:0xf// 000000004DA4: 0A6C6CFA FF015618
	v_mul_f32_dpp v55, v24, v55 row_newbcast:7 row_mask:0xf bank_mask:0xf// 000000004DAC: 0A6E6EFA FF015718
	v_mul_f32_dpp v56, v24, v56 row_newbcast:4 row_mask:0xf bank_mask:0xf// 000000004DB4: 0A7070FA FF015418
	v_mul_f32_dpp v57, v24, v57 row_newbcast:5 row_mask:0xf bank_mask:0xf// 000000004DBC: 0A7272FA FF015518
	v_mul_f32_dpp v58, v24, v58 row_newbcast:6 row_mask:0xf bank_mask:0xf// 000000004DC4: 0A7474FA FF015618
	v_mul_f32_dpp v59, v24, v59 row_newbcast:7 row_mask:0xf bank_mask:0xf// 000000004DCC: 0A7676FA FF015718
	v_mul_f32_dpp v60, v26, v60 row_newbcast:0 row_mask:0xf bank_mask:0xf// 000000004DD4: 0A7878FA FF01501A
	v_mul_f32_dpp v61, v26, v61 row_newbcast:1 row_mask:0xf bank_mask:0xf// 000000004DDC: 0A7A7AFA FF01511A
	v_mul_f32_dpp v62, v26, v62 row_newbcast:2 row_mask:0xf bank_mask:0xf// 000000004DE4: 0A7C7CFA FF01521A
	v_mul_f32_dpp v63, v26, v63 row_newbcast:3 row_mask:0xf bank_mask:0xf// 000000004DEC: 0A7E7EFA FF01531A
	v_mul_f32_dpp v64, v26, v64 row_newbcast:0 row_mask:0xf bank_mask:0xf// 000000004DF4: 0A8080FA FF01501A
	v_mul_f32_dpp v65, v26, v65 row_newbcast:1 row_mask:0xf bank_mask:0xf// 000000004DFC: 0A8282FA FF01511A
	v_mul_f32_dpp v66, v26, v66 row_newbcast:2 row_mask:0xf bank_mask:0xf// 000000004E04: 0A8484FA FF01521A
	v_mul_f32_dpp v67, v26, v67 row_newbcast:3 row_mask:0xf bank_mask:0xf// 000000004E0C: 0A8686FA FF01531A
	v_mul_f32_dpp v68, v26, v68 row_newbcast:4 row_mask:0xf bank_mask:0xf// 000000004E14: 0A8888FA FF01541A
	v_mul_f32_dpp v69, v26, v69 row_newbcast:5 row_mask:0xf bank_mask:0xf// 000000004E1C: 0A8A8AFA FF01551A
	v_mul_f32_dpp v70, v26, v70 row_newbcast:6 row_mask:0xf bank_mask:0xf// 000000004E24: 0A8C8CFA FF01561A
	v_mul_f32_dpp v71, v26, v71 row_newbcast:7 row_mask:0xf bank_mask:0xf// 000000004E2C: 0A8E8EFA FF01571A
	v_mul_f32_dpp v72, v26, v72 row_newbcast:4 row_mask:0xf bank_mask:0xf// 000000004E34: 0A9090FA FF01541A
	v_mul_f32_dpp v73, v26, v73 row_newbcast:5 row_mask:0xf bank_mask:0xf// 000000004E3C: 0A9292FA FF01551A
	v_mul_f32_dpp v74, v26, v74 row_newbcast:6 row_mask:0xf bank_mask:0xf// 000000004E44: 0A9494FA FF01561A
	v_mul_f32_dpp v75, v26, v75 row_newbcast:7 row_mask:0xf bank_mask:0xf// 000000004E4C: 0A9696FA FF01571A
	v_mul_f32_e32 v30, v30, v76                                // 000000004E54: 0A3C991E
	v_mov_b32_e32 v4, v30                                      // 000000004E58: 7E08031E
	v_mov_b32_e32 v5, v4                                       // 000000004E5C: 7E0A0304
	v_pk_mul_f32 v[44:45], v[4:5], v[44:45]                    // 000000004E60: D3B1402C 18025904
	v_pk_mul_f32 v[60:61], v[4:5], v[60:61]                    // 000000004E68: D3B1403C 18027904
	v_pk_mul_f32 v[46:47], v[4:5], v[46:47]                    // 000000004E70: D3B1402E 18025D04
	v_pk_mul_f32 v[62:63], v[4:5], v[62:63]                    // 000000004E78: D3B1403E 18027D04
	v_pk_mul_f32 v[52:53], v[4:5], v[52:53]                    // 000000004E80: D3B14034 18026904
	v_pk_mul_f32 v[68:69], v[4:5], v[68:69]                    // 000000004E88: D3B14044 18028904
	v_pk_mul_f32 v[54:55], v[4:5], v[54:55]                    // 000000004E90: D3B14036 18026D04
	v_pk_mul_f32 v[70:71], v[4:5], v[70:71]                    // 000000004E98: D3B14046 18028D04
	v_mul_f32_e32 v31, v31, v77                                // 000000004EA0: 0A3E9B1F
	v_mov_b32_e32 v4, v31                                      // 000000004EA4: 7E08031F
	v_mov_b32_e32 v5, v4                                       // 000000004EA8: 7E0A0304
	v_pk_mul_f32 v[48:49], v[4:5], v[48:49]                    // 000000004EAC: D3B14030 18026104
	v_pk_mul_f32 v[64:65], v[4:5], v[64:65]                    // 000000004EB4: D3B14040 18028104
	v_pk_mul_f32 v[50:51], v[4:5], v[50:51]                    // 000000004EBC: D3B14032 18026504
	v_pk_mul_f32 v[66:67], v[4:5], v[66:67]                    // 000000004EC4: D3B14042 18028504
	v_pk_mul_f32 v[56:57], v[4:5], v[56:57]                    // 000000004ECC: D3B14038 18027104
	v_pk_mul_f32 v[72:73], v[4:5], v[72:73]                    // 000000004ED4: D3B14048 18029104
	v_pk_mul_f32 v[58:59], v[4:5], v[58:59]                    // 000000004EDC: D3B1403A 18027504
	v_pk_mul_f32 v[74:75], v[4:5], v[74:75]                    // 000000004EE4: D3B1404A 18029504
	s_cmp_eq_u32 s88, 0                                        // 000000004EEC: BF068058
	s_cbranch_scc0 label_0BB1                                  // 000000004EF0: BF840271
	s_cmp_eq_u32 s89, 0                                        // 000000004EF4: BF068059
	s_cbranch_scc1 label_09E7                                  // 000000004EF8: BF8500A5
	v_mov_b32_e32 v8, v1                                       // 000000004EFC: 7E100301
	v_mov_b32_e32 v9, v1                                       // 000000004F00: 7E120301
	s_mov_b32 s60, s6                                          // 000000004F04: BEBC0006
	s_mov_b32 s61, s6                                          // 000000004F08: BEBD0006
	v_pk_mul_f32 v[4:5], v[44:45], v[44:45]                    // 000000004F0C: D3B14004 1802592C
	v_pk_mul_f32 v[6:7], v[46:47], v[46:47]                    // 000000004F14: D3B14006 18025D2E
	v_pk_fma_f32 v[4:5], v[4:5], s[78:79], v[8:9]              // 000000004F1C: D3B04004 1C209D04
	v_pk_fma_f32 v[6:7], v[6:7], s[78:79], v[8:9]              // 000000004F24: D3B04006 1C209D06
	v_pk_mul_f32 v[4:5], v[4:5], v[44:45]                      // 000000004F2C: D3B14004 18025904
	v_pk_mul_f32 v[6:7], v[6:7], v[46:47]                      // 000000004F34: D3B14006 18025D06
	v_pk_mul_f32 v[4:5], v[4:5], s[60:61]                      // 000000004F3C: D3B14004 18007904
	v_pk_mul_f32 v[6:7], v[6:7], s[60:61]                      // 000000004F44: D3B14006 18007906
	v_exp_f32_e32 v4, v4                                       // 000000004F4C: 7E084104
	v_exp_f32_e32 v5, v5                                       // 000000004F50: 7E0A4105
	v_exp_f32_e32 v6, v6                                       // 000000004F54: 7E0C4106
	v_exp_f32_e32 v7, v7                                       // 000000004F58: 7E0E4107
	v_add_f32_e64 v4, v4, 1.0                                  // 000000004F5C: D1010004 0001E504
	v_add_f32_e64 v5, v5, 1.0                                  // 000000004F64: D1010005 0001E505
	v_add_f32_e64 v6, v6, 1.0                                  // 000000004F6C: D1010006 0001E506
	v_add_f32_e64 v7, v7, 1.0                                  // 000000004F74: D1010007 0001E507
	v_rcp_f32_e32 v4, v4                                       // 000000004F7C: 7E084504
	v_rcp_f32_e32 v5, v5                                       // 000000004F80: 7E0A4505
	v_rcp_f32_e32 v6, v6                                       // 000000004F84: 7E0C4506
	v_rcp_f32_e32 v7, v7                                       // 000000004F88: 7E0E4507
	v_mul_f32_e32 v44, v44, v4                                 // 000000004F8C: 0A58092C
	v_mul_f32_e32 v45, v45, v5                                 // 000000004F90: 0A5A0B2D
	v_mul_f32_e32 v46, v46, v6                                 // 000000004F94: 0A5C0D2E
	v_mul_f32_e32 v47, v47, v7                                 // 000000004F98: 0A5E0F2F
	v_mul_f32_e32 v44, v44, v60                                // 000000004F9C: 0A58792C
	v_mul_f32_e32 v45, v45, v61                                // 000000004FA0: 0A5A7B2D
	v_mul_f32_e32 v46, v46, v62                                // 000000004FA4: 0A5C7D2E
	v_mul_f32_e32 v47, v47, v63                                // 000000004FA8: 0A5E7F2F
	v_pk_mul_f32 v[4:5], v[48:49], v[48:49]                    // 000000004FAC: D3B14004 18026130
	v_pk_mul_f32 v[6:7], v[50:51], v[50:51]                    // 000000004FB4: D3B14006 18026532
	v_pk_fma_f32 v[4:5], v[4:5], s[78:79], v[8:9]              // 000000004FBC: D3B04004 1C209D04
	v_pk_fma_f32 v[6:7], v[6:7], s[78:79], v[8:9]              // 000000004FC4: D3B04006 1C209D06
	v_pk_mul_f32 v[4:5], v[4:5], v[48:49]                      // 000000004FCC: D3B14004 18026104
	v_pk_mul_f32 v[6:7], v[6:7], v[50:51]                      // 000000004FD4: D3B14006 18026506
	v_pk_mul_f32 v[4:5], v[4:5], s[60:61]                      // 000000004FDC: D3B14004 18007904
	v_pk_mul_f32 v[6:7], v[6:7], s[60:61]                      // 000000004FE4: D3B14006 18007906
	v_exp_f32_e32 v4, v4                                       // 000000004FEC: 7E084104
	v_exp_f32_e32 v5, v5                                       // 000000004FF0: 7E0A4105
	v_exp_f32_e32 v6, v6                                       // 000000004FF4: 7E0C4106
	v_exp_f32_e32 v7, v7                                       // 000000004FF8: 7E0E4107
	v_add_f32_e64 v4, v4, 1.0                                  // 000000004FFC: D1010004 0001E504
	v_add_f32_e64 v5, v5, 1.0                                  // 000000005004: D1010005 0001E505
	v_add_f32_e64 v6, v6, 1.0                                  // 00000000500C: D1010006 0001E506
	v_add_f32_e64 v7, v7, 1.0                                  // 000000005014: D1010007 0001E507
	v_rcp_f32_e32 v4, v4                                       // 00000000501C: 7E084504
	v_rcp_f32_e32 v5, v5                                       // 000000005020: 7E0A4505
	v_rcp_f32_e32 v6, v6                                       // 000000005024: 7E0C4506
	v_rcp_f32_e32 v7, v7                                       // 000000005028: 7E0E4507
	v_mul_f32_e32 v48, v48, v4                                 // 00000000502C: 0A600930
	v_mul_f32_e32 v49, v49, v5                                 // 000000005030: 0A620B31
	v_mul_f32_e32 v50, v50, v6                                 // 000000005034: 0A640D32
	v_mul_f32_e32 v51, v51, v7                                 // 000000005038: 0A660F33
	v_mul_f32_e32 v48, v48, v64                                // 00000000503C: 0A608130
	v_mul_f32_e32 v49, v49, v65                                // 000000005040: 0A628331
	v_mul_f32_e32 v50, v50, v66                                // 000000005044: 0A648532
	v_mul_f32_e32 v51, v51, v67                                // 000000005048: 0A668733
	v_pk_mul_f32 v[4:5], v[52:53], v[52:53]                    // 00000000504C: D3B14004 18026934
	v_pk_mul_f32 v[6:7], v[54:55], v[54:55]                    // 000000005054: D3B14006 18026D36
	v_pk_fma_f32 v[4:5], v[4:5], s[78:79], v[8:9]              // 00000000505C: D3B04004 1C209D04
	v_pk_fma_f32 v[6:7], v[6:7], s[78:79], v[8:9]              // 000000005064: D3B04006 1C209D06
	v_pk_mul_f32 v[4:5], v[4:5], v[52:53]                      // 00000000506C: D3B14004 18026904
	v_pk_mul_f32 v[6:7], v[6:7], v[54:55]                      // 000000005074: D3B14006 18026D06
	v_pk_mul_f32 v[4:5], v[4:5], s[60:61]                      // 00000000507C: D3B14004 18007904
	v_pk_mul_f32 v[6:7], v[6:7], s[60:61]                      // 000000005084: D3B14006 18007906
	v_exp_f32_e32 v4, v4                                       // 00000000508C: 7E084104
	v_exp_f32_e32 v5, v5                                       // 000000005090: 7E0A4105
	v_exp_f32_e32 v6, v6                                       // 000000005094: 7E0C4106
	v_exp_f32_e32 v7, v7                                       // 000000005098: 7E0E4107
	v_add_f32_e64 v4, v4, 1.0                                  // 00000000509C: D1010004 0001E504
	v_add_f32_e64 v5, v5, 1.0                                  // 0000000050A4: D1010005 0001E505
	v_add_f32_e64 v6, v6, 1.0                                  // 0000000050AC: D1010006 0001E506
	v_add_f32_e64 v7, v7, 1.0                                  // 0000000050B4: D1010007 0001E507
	v_rcp_f32_e32 v4, v4                                       // 0000000050BC: 7E084504
	v_rcp_f32_e32 v5, v5                                       // 0000000050C0: 7E0A4505
	v_rcp_f32_e32 v6, v6                                       // 0000000050C4: 7E0C4506
	v_rcp_f32_e32 v7, v7                                       // 0000000050C8: 7E0E4507
	v_mul_f32_e32 v52, v52, v4                                 // 0000000050CC: 0A680934
	v_mul_f32_e32 v53, v53, v5                                 // 0000000050D0: 0A6A0B35
	v_mul_f32_e32 v54, v54, v6                                 // 0000000050D4: 0A6C0D36
	v_mul_f32_e32 v55, v55, v7                                 // 0000000050D8: 0A6E0F37
	v_mul_f32_e32 v52, v52, v68                                // 0000000050DC: 0A688934
	v_mul_f32_e32 v53, v53, v69                                // 0000000050E0: 0A6A8B35
	v_mul_f32_e32 v54, v54, v70                                // 0000000050E4: 0A6C8D36
	v_mul_f32_e32 v55, v55, v71                                // 0000000050E8: 0A6E8F37
	v_pk_mul_f32 v[4:5], v[56:57], v[56:57]                    // 0000000050EC: D3B14004 18027138
	v_pk_mul_f32 v[6:7], v[58:59], v[58:59]                    // 0000000050F4: D3B14006 1802753A
	v_pk_fma_f32 v[4:5], v[4:5], s[78:79], v[8:9]              // 0000000050FC: D3B04004 1C209D04
	v_pk_fma_f32 v[6:7], v[6:7], s[78:79], v[8:9]              // 000000005104: D3B04006 1C209D06
	v_pk_mul_f32 v[4:5], v[4:5], v[56:57]                      // 00000000510C: D3B14004 18027104
	v_pk_mul_f32 v[6:7], v[6:7], v[58:59]                      // 000000005114: D3B14006 18027506
	v_pk_mul_f32 v[4:5], v[4:5], s[60:61]                      // 00000000511C: D3B14004 18007904
	v_pk_mul_f32 v[6:7], v[6:7], s[60:61]                      // 000000005124: D3B14006 18007906
	v_exp_f32_e32 v4, v4                                       // 00000000512C: 7E084104
	v_exp_f32_e32 v5, v5                                       // 000000005130: 7E0A4105
	v_exp_f32_e32 v6, v6                                       // 000000005134: 7E0C4106
	v_exp_f32_e32 v7, v7                                       // 000000005138: 7E0E4107
	v_add_f32_e64 v4, v4, 1.0                                  // 00000000513C: D1010004 0001E504
	v_add_f32_e64 v5, v5, 1.0                                  // 000000005144: D1010005 0001E505
	v_add_f32_e64 v6, v6, 1.0                                  // 00000000514C: D1010006 0001E506
	v_add_f32_e64 v7, v7, 1.0                                  // 000000005154: D1010007 0001E507
	v_rcp_f32_e32 v4, v4                                       // 00000000515C: 7E084504
	v_rcp_f32_e32 v5, v5                                       // 000000005160: 7E0A4505
	v_rcp_f32_e32 v6, v6                                       // 000000005164: 7E0C4506
	v_rcp_f32_e32 v7, v7                                       // 000000005168: 7E0E4507
	v_mul_f32_e32 v56, v56, v4                                 // 00000000516C: 0A700938
	v_mul_f32_e32 v57, v57, v5                                 // 000000005170: 0A720B39
	v_mul_f32_e32 v58, v58, v6                                 // 000000005174: 0A740D3A
	v_mul_f32_e32 v59, v59, v7                                 // 000000005178: 0A760F3B
	v_mul_f32_e32 v56, v56, v72                                // 00000000517C: 0A709138
	v_mul_f32_e32 v57, v57, v73                                // 000000005180: 0A729339
	v_mul_f32_e32 v58, v58, v74                                // 000000005184: 0A74953A
	v_mul_f32_e32 v59, v59, v75                                // 000000005188: 0A76973B
	s_branch label_0A67                                        // 00000000518C: BF820080

0000000000005190 <label_09E7>:
	v_mul_f32_e64 v4, -v44, s6                                 // 000000005190: D1050004 20000D2C
	v_mul_f32_e64 v5, -v45, s6                                 // 000000005198: D1050005 20000D2D
	v_mul_f32_e64 v6, -v46, s6                                 // 0000000051A0: D1050006 20000D2E
	v_mul_f32_e64 v7, -v47, s6                                 // 0000000051A8: D1050007 20000D2F
	v_exp_f32_e32 v4, v4                                       // 0000000051B0: 7E084104
	v_exp_f32_e32 v5, v5                                       // 0000000051B4: 7E0A4105
	v_exp_f32_e32 v6, v6                                       // 0000000051B8: 7E0C4106
	v_exp_f32_e32 v7, v7                                       // 0000000051BC: 7E0E4107
	v_add_f32_e64 v4, v4, 1.0                                  // 0000000051C0: D1010004 0001E504
	v_add_f32_e64 v5, v5, 1.0                                  // 0000000051C8: D1010005 0001E505
	v_add_f32_e64 v6, v6, 1.0                                  // 0000000051D0: D1010006 0001E506
	v_add_f32_e64 v7, v7, 1.0                                  // 0000000051D8: D1010007 0001E507
	v_rcp_f32_e32 v4, v4                                       // 0000000051E0: 7E084504
	v_rcp_f32_e32 v5, v5                                       // 0000000051E4: 7E0A4505
	v_rcp_f32_e32 v6, v6                                       // 0000000051E8: 7E0C4506
	v_rcp_f32_e32 v7, v7                                       // 0000000051EC: 7E0E4507
	v_mul_f32_e32 v44, v44, v4                                 // 0000000051F0: 0A58092C
	v_mul_f32_e32 v45, v45, v5                                 // 0000000051F4: 0A5A0B2D
	v_mul_f32_e32 v46, v46, v6                                 // 0000000051F8: 0A5C0D2E
	v_mul_f32_e32 v47, v47, v7                                 // 0000000051FC: 0A5E0F2F
	v_mul_f32_e32 v44, v44, v60                                // 000000005200: 0A58792C
	v_mul_f32_e32 v45, v45, v61                                // 000000005204: 0A5A7B2D
	v_mul_f32_e32 v46, v46, v62                                // 000000005208: 0A5C7D2E
	v_mul_f32_e32 v47, v47, v63                                // 00000000520C: 0A5E7F2F
	v_mul_f32_e64 v4, -v48, s6                                 // 000000005210: D1050004 20000D30
	v_mul_f32_e64 v5, -v49, s6                                 // 000000005218: D1050005 20000D31
	v_mul_f32_e64 v6, -v50, s6                                 // 000000005220: D1050006 20000D32
	v_mul_f32_e64 v7, -v51, s6                                 // 000000005228: D1050007 20000D33
	v_exp_f32_e32 v4, v4                                       // 000000005230: 7E084104
	v_exp_f32_e32 v5, v5                                       // 000000005234: 7E0A4105
	v_exp_f32_e32 v6, v6                                       // 000000005238: 7E0C4106
	v_exp_f32_e32 v7, v7                                       // 00000000523C: 7E0E4107
	v_add_f32_e64 v4, v4, 1.0                                  // 000000005240: D1010004 0001E504
	v_add_f32_e64 v5, v5, 1.0                                  // 000000005248: D1010005 0001E505
	v_add_f32_e64 v6, v6, 1.0                                  // 000000005250: D1010006 0001E506
	v_add_f32_e64 v7, v7, 1.0                                  // 000000005258: D1010007 0001E507
	v_rcp_f32_e32 v4, v4                                       // 000000005260: 7E084504
	v_rcp_f32_e32 v5, v5                                       // 000000005264: 7E0A4505
	v_rcp_f32_e32 v6, v6                                       // 000000005268: 7E0C4506
	v_rcp_f32_e32 v7, v7                                       // 00000000526C: 7E0E4507
	v_mul_f32_e32 v48, v48, v4                                 // 000000005270: 0A600930
	v_mul_f32_e32 v49, v49, v5                                 // 000000005274: 0A620B31
	v_mul_f32_e32 v50, v50, v6                                 // 000000005278: 0A640D32
	v_mul_f32_e32 v51, v51, v7                                 // 00000000527C: 0A660F33
	v_mul_f32_e32 v48, v48, v64                                // 000000005280: 0A608130
	v_mul_f32_e32 v49, v49, v65                                // 000000005284: 0A628331
	v_mul_f32_e32 v50, v50, v66                                // 000000005288: 0A648532
	v_mul_f32_e32 v51, v51, v67                                // 00000000528C: 0A668733
	v_mul_f32_e64 v4, -v52, s6                                 // 000000005290: D1050004 20000D34
	v_mul_f32_e64 v5, -v53, s6                                 // 000000005298: D1050005 20000D35
	v_mul_f32_e64 v6, -v54, s6                                 // 0000000052A0: D1050006 20000D36
	v_mul_f32_e64 v7, -v55, s6                                 // 0000000052A8: D1050007 20000D37
	v_exp_f32_e32 v4, v4                                       // 0000000052B0: 7E084104
	v_exp_f32_e32 v5, v5                                       // 0000000052B4: 7E0A4105
	v_exp_f32_e32 v6, v6                                       // 0000000052B8: 7E0C4106
	v_exp_f32_e32 v7, v7                                       // 0000000052BC: 7E0E4107
	v_add_f32_e64 v4, v4, 1.0                                  // 0000000052C0: D1010004 0001E504
	v_add_f32_e64 v5, v5, 1.0                                  // 0000000052C8: D1010005 0001E505
	v_add_f32_e64 v6, v6, 1.0                                  // 0000000052D0: D1010006 0001E506
	v_add_f32_e64 v7, v7, 1.0                                  // 0000000052D8: D1010007 0001E507
	v_rcp_f32_e32 v4, v4                                       // 0000000052E0: 7E084504
	v_rcp_f32_e32 v5, v5                                       // 0000000052E4: 7E0A4505
	v_rcp_f32_e32 v6, v6                                       // 0000000052E8: 7E0C4506
	v_rcp_f32_e32 v7, v7                                       // 0000000052EC: 7E0E4507
	v_mul_f32_e32 v52, v52, v4                                 // 0000000052F0: 0A680934
	v_mul_f32_e32 v53, v53, v5                                 // 0000000052F4: 0A6A0B35
	v_mul_f32_e32 v54, v54, v6                                 // 0000000052F8: 0A6C0D36
	v_mul_f32_e32 v55, v55, v7                                 // 0000000052FC: 0A6E0F37
	v_mul_f32_e32 v52, v52, v68                                // 000000005300: 0A688934
	v_mul_f32_e32 v53, v53, v69                                // 000000005304: 0A6A8B35
	v_mul_f32_e32 v54, v54, v70                                // 000000005308: 0A6C8D36
	v_mul_f32_e32 v55, v55, v71                                // 00000000530C: 0A6E8F37
	v_mul_f32_e64 v4, -v56, s6                                 // 000000005310: D1050004 20000D38
	v_mul_f32_e64 v5, -v57, s6                                 // 000000005318: D1050005 20000D39
	v_mul_f32_e64 v6, -v58, s6                                 // 000000005320: D1050006 20000D3A
	v_mul_f32_e64 v7, -v59, s6                                 // 000000005328: D1050007 20000D3B
	v_exp_f32_e32 v4, v4                                       // 000000005330: 7E084104
	v_exp_f32_e32 v5, v5                                       // 000000005334: 7E0A4105
	v_exp_f32_e32 v6, v6                                       // 000000005338: 7E0C4106
	v_exp_f32_e32 v7, v7                                       // 00000000533C: 7E0E4107
	v_add_f32_e64 v4, v4, 1.0                                  // 000000005340: D1010004 0001E504
	v_add_f32_e64 v5, v5, 1.0                                  // 000000005348: D1010005 0001E505
	v_add_f32_e64 v6, v6, 1.0                                  // 000000005350: D1010006 0001E506
	v_add_f32_e64 v7, v7, 1.0                                  // 000000005358: D1010007 0001E507
	v_rcp_f32_e32 v4, v4                                       // 000000005360: 7E084504
	v_rcp_f32_e32 v5, v5                                       // 000000005364: 7E0A4505
	v_rcp_f32_e32 v6, v6                                       // 000000005368: 7E0C4506
	v_rcp_f32_e32 v7, v7                                       // 00000000536C: 7E0E4507
	v_mul_f32_e32 v56, v56, v4                                 // 000000005370: 0A700938
	v_mul_f32_e32 v57, v57, v5                                 // 000000005374: 0A720B39
	v_mul_f32_e32 v58, v58, v6                                 // 000000005378: 0A740D3A
	v_mul_f32_e32 v59, v59, v7                                 // 00000000537C: 0A760F3B
	v_mul_f32_e32 v56, v56, v72                                // 000000005380: 0A709138
	v_mul_f32_e32 v57, v57, v73                                // 000000005384: 0A729339
	v_mul_f32_e32 v58, v58, v74                                // 000000005388: 0A74953A
	v_mul_f32_e32 v59, v59, v75                                // 00000000538C: 0A76973B

0000000000005390 <label_0A67>:
	v_cmp_u_f32_e64 s[46:47], v44, v44                         // 000000005390: D048002E 0002592C
	v_add3_u32 v16, v44, v19, 1                                // 000000005398: D1FF0010 0206272C
	v_cndmask_b32_e64 v4, v16, v18, s[46:47]                   // 0000000053A0: D1000004 00BA2510
	v_cmp_u_f32_e64 s[46:47], v45, v45                         // 0000000053A8: D048002E 00025B2D
	v_add3_u32 v16, v45, v19, 1                                // 0000000053B0: D1FF0010 0206272D
	v_cndmask_b32_e64 v5, v16, v18, s[46:47]                   // 0000000053B8: D1000005 00BA2510
	v_perm_b32 v44, v5, v4, s52                                // 0000000053C0: D1ED002C 00D20905
	v_cmp_u_f32_e64 s[46:47], v46, v46                         // 0000000053C8: D048002E 00025D2E
	v_add3_u32 v16, v46, v19, 1                                // 0000000053D0: D1FF0010 0206272E
	v_cndmask_b32_e64 v4, v16, v18, s[46:47]                   // 0000000053D8: D1000004 00BA2510
	v_cmp_u_f32_e64 s[46:47], v47, v47                         // 0000000053E0: D048002E 00025F2F
	v_add3_u32 v16, v47, v19, 1                                // 0000000053E8: D1FF0010 0206272F
	v_cndmask_b32_e64 v5, v16, v18, s[46:47]                   // 0000000053F0: D1000005 00BA2510
	v_perm_b32 v45, v5, v4, s52                                // 0000000053F8: D1ED002D 00D20905
	v_cmp_u_f32_e64 s[46:47], v48, v48                         // 000000005400: D048002E 00026130
	v_add3_u32 v16, v48, v19, 1                                // 000000005408: D1FF0010 02062730
	v_cndmask_b32_e64 v4, v16, v18, s[46:47]                   // 000000005410: D1000004 00BA2510
	v_cmp_u_f32_e64 s[46:47], v49, v49                         // 000000005418: D048002E 00026331
	v_add3_u32 v16, v49, v19, 1                                // 000000005420: D1FF0010 02062731
	v_cndmask_b32_e64 v5, v16, v18, s[46:47]                   // 000000005428: D1000005 00BA2510
	v_perm_b32 v46, v5, v4, s52                                // 000000005430: D1ED002E 00D20905
	v_cmp_u_f32_e64 s[46:47], v50, v50                         // 000000005438: D048002E 00026532
	v_add3_u32 v16, v50, v19, 1                                // 000000005440: D1FF0010 02062732
	v_cndmask_b32_e64 v4, v16, v18, s[46:47]                   // 000000005448: D1000004 00BA2510
	v_cmp_u_f32_e64 s[46:47], v51, v51                         // 000000005450: D048002E 00026733
	v_add3_u32 v16, v51, v19, 1                                // 000000005458: D1FF0010 02062733
	v_cndmask_b32_e64 v5, v16, v18, s[46:47]                   // 000000005460: D1000005 00BA2510
	v_perm_b32 v47, v5, v4, s52                                // 000000005468: D1ED002F 00D20905
	v_cmp_u_f32_e64 s[46:47], v52, v52                         // 000000005470: D048002E 00026934
	v_add3_u32 v16, v52, v19, 1                                // 000000005478: D1FF0010 02062734
	v_cndmask_b32_e64 v4, v16, v18, s[46:47]                   // 000000005480: D1000004 00BA2510
	v_cmp_u_f32_e64 s[46:47], v53, v53                         // 000000005488: D048002E 00026B35
	v_add3_u32 v16, v53, v19, 1                                // 000000005490: D1FF0010 02062735
	v_cndmask_b32_e64 v5, v16, v18, s[46:47]                   // 000000005498: D1000005 00BA2510
	v_perm_b32 v48, v5, v4, s52                                // 0000000054A0: D1ED0030 00D20905
	v_cmp_u_f32_e64 s[46:47], v54, v54                         // 0000000054A8: D048002E 00026D36
	v_add3_u32 v16, v54, v19, 1                                // 0000000054B0: D1FF0010 02062736
	v_cndmask_b32_e64 v4, v16, v18, s[46:47]                   // 0000000054B8: D1000004 00BA2510
	v_cmp_u_f32_e64 s[46:47], v55, v55                         // 0000000054C0: D048002E 00026F37
	v_add3_u32 v16, v55, v19, 1                                // 0000000054C8: D1FF0010 02062737
	v_cndmask_b32_e64 v5, v16, v18, s[46:47]                   // 0000000054D0: D1000005 00BA2510
	v_perm_b32 v49, v5, v4, s52                                // 0000000054D8: D1ED0031 00D20905
	v_cmp_u_f32_e64 s[46:47], v56, v56                         // 0000000054E0: D048002E 00027138
	v_add3_u32 v16, v56, v19, 1                                // 0000000054E8: D1FF0010 02062738
	v_cndmask_b32_e64 v4, v16, v18, s[46:47]                   // 0000000054F0: D1000004 00BA2510
	v_cmp_u_f32_e64 s[46:47], v57, v57                         // 0000000054F8: D048002E 00027339
	v_add3_u32 v16, v57, v19, 1                                // 000000005500: D1FF0010 02062739
	v_cndmask_b32_e64 v5, v16, v18, s[46:47]                   // 000000005508: D1000005 00BA2510
	v_perm_b32 v50, v5, v4, s52                                // 000000005510: D1ED0032 00D20905
	v_cmp_u_f32_e64 s[46:47], v58, v58                         // 000000005518: D048002E 0002753A
	v_add3_u32 v16, v58, v19, 1                                // 000000005520: D1FF0010 0206273A
	v_cndmask_b32_e64 v4, v16, v18, s[46:47]                   // 000000005528: D1000004 00BA2510
	v_cmp_u_f32_e64 s[46:47], v59, v59                         // 000000005530: D048002E 0002773B
	v_add3_u32 v16, v59, v19, 1                                // 000000005538: D1FF0010 0206273B
	v_cndmask_b32_e64 v5, v16, v18, s[46:47]                   // 000000005540: D1000005 00BA2510
	v_perm_b32 v51, v5, v4, s52                                // 000000005548: D1ED0033 00D20905
	ds_write_b64 v20, v[44:45]                                 // 000000005550: D89A0000 00002C14
	ds_write_b64 v20, v[46:47] offset:4352                     // 000000005558: D89A1100 00002E14
	ds_write_b64 v20, v[48:49] offset:2176                     // 000000005560: D89A0880 00003014
	ds_write_b64 v20, v[50:51] offset:6528                     // 000000005568: D89A1980 00003214
	v_lshrrev_b32_e32 v4, 5, v0                                // 000000005570: 20080085
	v_xor_b32_e32 v5, 1, v4                                    // 000000005574: 2A0A0881
	s_mul_i32 s60, s65, 2                                      // 000000005578: 923C8241
	s_cmp_eq_u32 s88, 0                                        // 00000000557C: BF068058
	s_cselect_b32 s61, 1, 4                                    // 000000005580: 853D8481
	s_mul_i32 s60, s61, s60                                    // 000000005584: 923C3C3D
	v_readlane_b32 s82, v3, 0                                  // 000000005588: D2890052 00010103
	s_lshr_b32 s61, s82, 24                                    // 000000005590: 8F3D9852
	s_and_b32 s82, s82, 0xffffff                               // 000000005594: 8652FF52 00FFFFFF
	s_mul_i32 s82, s82, s71                                    // 00000000559C: 92524752
	s_mul_i32 s61, s60, s61                                    // 0000000055A0: 923D3D3C
	s_add_u32 s82, s82, s61                                    // 0000000055A4: 80523D52
	v_mul_lo_u32 v6, v5, s82                                   // 0000000055A8: D2850006 0000A505
	v_readlane_b32 s82, v3, 1                                  // 0000000055B0: D2890052 00010303
	s_lshr_b32 s61, s82, 24                                    // 0000000055B8: 8F3D9852
	s_and_b32 s82, s82, 0xffffff                               // 0000000055BC: 8652FF52 00FFFFFF
	s_mul_i32 s82, s82, s71                                    // 0000000055C4: 92524752
	s_mul_i32 s61, s60, s61                                    // 0000000055C8: 923D3D3C
	s_add_u32 s82, s82, s61                                    // 0000000055CC: 80523D52
	v_mul_lo_u32 v7, v4, s82                                   // 0000000055D0: D2850007 0000A504
	v_add_u32_e32 v36, v6, v7                                  // 0000000055D8: 68480F06
	v_readlane_b32 s82, v3, 2                                  // 0000000055DC: D2890052 00010503
	s_lshr_b32 s61, s82, 24                                    // 0000000055E4: 8F3D9852
	s_and_b32 s82, s82, 0xffffff                               // 0000000055E8: 8652FF52 00FFFFFF
	s_mul_i32 s82, s82, s71                                    // 0000000055F0: 92524752
	s_mul_i32 s61, s60, s61                                    // 0000000055F4: 923D3D3C
	s_add_u32 s82, s82, s61                                    // 0000000055F8: 80523D52
	v_mul_lo_u32 v6, v5, s82                                   // 0000000055FC: D2850006 0000A505
	v_readlane_b32 s82, v3, 3                                  // 000000005604: D2890052 00010703
	s_lshr_b32 s61, s82, 24                                    // 00000000560C: 8F3D9852
	s_and_b32 s82, s82, 0xffffff                               // 000000005610: 8652FF52 00FFFFFF
	s_mul_i32 s82, s82, s71                                    // 000000005618: 92524752
	s_mul_i32 s61, s60, s61                                    // 00000000561C: 923D3D3C
	s_add_u32 s82, s82, s61                                    // 000000005620: 80523D52
	v_mul_lo_u32 v7, v4, s82                                   // 000000005624: D2850007 0000A504
	v_add_u32_e32 v37, v6, v7                                  // 00000000562C: 684A0F06
	v_readlane_b32 s82, v3, 4                                  // 000000005630: D2890052 00010903
	s_lshr_b32 s61, s82, 24                                    // 000000005638: 8F3D9852
	s_and_b32 s82, s82, 0xffffff                               // 00000000563C: 8652FF52 00FFFFFF
	s_mul_i32 s82, s82, s71                                    // 000000005644: 92524752
	s_mul_i32 s61, s60, s61                                    // 000000005648: 923D3D3C
	s_add_u32 s82, s82, s61                                    // 00000000564C: 80523D52
	v_mul_lo_u32 v6, v5, s82                                   // 000000005650: D2850006 0000A505
	v_readlane_b32 s82, v3, 5                                  // 000000005658: D2890052 00010B03
	s_lshr_b32 s61, s82, 24                                    // 000000005660: 8F3D9852
	s_and_b32 s82, s82, 0xffffff                               // 000000005664: 8652FF52 00FFFFFF
	s_mul_i32 s82, s82, s71                                    // 00000000566C: 92524752
	s_mul_i32 s61, s60, s61                                    // 000000005670: 923D3D3C
	s_add_u32 s82, s82, s61                                    // 000000005674: 80523D52
	v_mul_lo_u32 v7, v4, s82                                   // 000000005678: D2850007 0000A504
	v_add_u32_e32 v38, v6, v7                                  // 000000005680: 684C0F06
	v_readlane_b32 s82, v3, 6                                  // 000000005684: D2890052 00010D03
	s_lshr_b32 s61, s82, 24                                    // 00000000568C: 8F3D9852
	s_and_b32 s82, s82, 0xffffff                               // 000000005690: 8652FF52 00FFFFFF
	s_mul_i32 s82, s82, s71                                    // 000000005698: 92524752
	s_mul_i32 s61, s60, s61                                    // 00000000569C: 923D3D3C
	s_add_u32 s82, s82, s61                                    // 0000000056A0: 80523D52
	v_mul_lo_u32 v6, v5, s82                                   // 0000000056A4: D2850006 0000A505
	v_readlane_b32 s82, v3, 7                                  // 0000000056AC: D2890052 00010F03
	s_lshr_b32 s61, s82, 24                                    // 0000000056B4: 8F3D9852
	s_and_b32 s82, s82, 0xffffff                               // 0000000056B8: 8652FF52 00FFFFFF
	s_mul_i32 s82, s82, s71                                    // 0000000056C0: 92524752
	s_mul_i32 s61, s60, s61                                    // 0000000056C4: 923D3D3C
	s_add_u32 s82, s82, s61                                    // 0000000056C8: 80523D52
	v_mul_lo_u32 v7, v4, s82                                   // 0000000056CC: D2850007 0000A504
	v_add_u32_e32 v39, v6, v7                                  // 0000000056D4: 684E0F06
	v_and_b32_e32 v4, 31, v0                                   // 0000000056D8: 2608009F
	v_lshrrev_b32_e32 v4, 1, v4                                // 0000000056DC: 20080881
	s_cmp_eq_u32 s88, 0                                        // 0000000056E0: BF068058
	s_cselect_b32 s61, 2, 4                                    // 0000000056E4: 853D8482
	v_mul_lo_u32 v4, v4, s61                                   // 0000000056E8: D2850004 00007B04
	v_and_b32_e64 v5, v0, 1                                    // 0000000056F0: D1130005 00010300
	v_add_u32_e32 v4, v4, v5                                   // 0000000056F8: 68080B04
	v_lshlrev_b32_e32 v4, 2, v4                                // 0000000056FC: 24080882
	v_add_u32_e32 v36, v36, v4                                 // 000000005700: 68480924
	v_add_u32_e32 v37, v37, v4                                 // 000000005704: 684A0925
	v_add_u32_e32 v38, v38, v4                                 // 000000005708: 684C0926
	v_add_u32_e32 v39, v39, v4                                 // 00000000570C: 684E0927
	s_waitcnt lgkmcnt(0)                                       // 000000005710: BF8CC07F
	s_barrier                                                  // 000000005714: BF8A0000
	ds_read_b32 v44, v21                                       // 000000005718: D86C0000 2C000015
	ds_read_b32 v45, v21 offset:64                             // 000000005720: D86C0040 2D000015
	ds_read_b32 v46, v21 offset:2176                           // 000000005728: D86C0880 2E000015
	ds_read_b32 v47, v21 offset:2240                           // 000000005730: D86C08C0 2F000015
	ds_read_b32 v48, v21 offset:4352                           // 000000005738: D86C1100 30000015
	ds_read_b32 v49, v21 offset:4416                           // 000000005740: D86C1140 31000015
	ds_read_b32 v50, v21 offset:6528                           // 000000005748: D86C1980 32000015
	ds_read_b32 v51, v21 offset:6592                           // 000000005750: D86C19C0 33000015
	s_waitcnt lgkmcnt(0)                                       // 000000005758: BF8CC07F
	s_mov_b32 s36, -1                                          // 00000000575C: BEA400C1
	s_mov_b32 s37, -1                                          // 000000005760: BEA500C1
	v_mov_b32_e32 v7, 0                                        // 000000005764: 7E0E0280
	s_or_b32 s9, s9, 0x40000                                   // 000000005768: 8709FF09 00040000
	s_mov_b64 exec, s[36:37]                                   // 000000005770: BEFE0124
	v_mov_b32_e32 v6, v36                                      // 000000005774: 7E0C0324
	s_mov_b64 s[60:61], 0                                      // 000000005778: BEBC0180
	v_readlane_b32 s82, v3, 0                                  // 00000000577C: D2890052 00010103
	s_and_b32 s82, s82, 0xffffff                               // 000000005784: 8652FF52 00FFFFFF
	s_cmp_lt_u32 s82, s66                                      // 00000000578C: BF0A4252
	s_cselect_b32 s20, s36, s60                                // 000000005790: 85143C24
	v_readlane_b32 s82, v3, 1                                  // 000000005794: D2890052 00010303
	s_and_b32 s82, s82, 0xffffff                               // 00000000579C: 8652FF52 00FFFFFF
	s_cmp_lt_u32 s82, s66                                      // 0000000057A4: BF0A4252
	s_cselect_b32 s21, s36, s60                                // 0000000057A8: 85153C24
	s_mov_b64 exec, s[20:21]                                   // 0000000057AC: BEFE0114
	buffer_store_dword v44, v6, s[8:11], 0 offen               // 0000000057B0: E0701000 80022C06
	buffer_store_dword v46, v6, s[8:11], 0 offen offset:128    // 0000000057B8: E0701080 80022E06
	s_mov_b64 exec, s[36:37]                                   // 0000000057C0: BEFE0124
	v_mov_b32_e32 v6, v37                                      // 0000000057C4: 7E0C0325
	s_mov_b64 s[60:61], 0                                      // 0000000057C8: BEBC0180
	v_readlane_b32 s82, v3, 2                                  // 0000000057CC: D2890052 00010503
	s_and_b32 s82, s82, 0xffffff                               // 0000000057D4: 8652FF52 00FFFFFF
	s_cmp_lt_u32 s82, s66                                      // 0000000057DC: BF0A4252
	s_cselect_b32 s20, s36, s60                                // 0000000057E0: 85143C24
	v_readlane_b32 s82, v3, 3                                  // 0000000057E4: D2890052 00010703
	s_and_b32 s82, s82, 0xffffff                               // 0000000057EC: 8652FF52 00FFFFFF
	s_cmp_lt_u32 s82, s66                                      // 0000000057F4: BF0A4252
	s_cselect_b32 s21, s36, s60                                // 0000000057F8: 85153C24
	s_mov_b64 exec, s[20:21]                                   // 0000000057FC: BEFE0114
	buffer_store_dword v45, v6, s[8:11], 0 offen               // 000000005800: E0701000 80022D06
	buffer_store_dword v47, v6, s[8:11], 0 offen offset:128    // 000000005808: E0701080 80022F06
	s_mov_b64 exec, s[36:37]                                   // 000000005810: BEFE0124
	v_mov_b32_e32 v6, v38                                      // 000000005814: 7E0C0326
	s_mov_b64 s[60:61], 0                                      // 000000005818: BEBC0180
	v_readlane_b32 s82, v3, 4                                  // 00000000581C: D2890052 00010903
	s_and_b32 s82, s82, 0xffffff                               // 000000005824: 8652FF52 00FFFFFF
	s_cmp_lt_u32 s82, s66                                      // 00000000582C: BF0A4252
	s_cselect_b32 s20, s36, s60                                // 000000005830: 85143C24
	v_readlane_b32 s82, v3, 5                                  // 000000005834: D2890052 00010B03
	s_and_b32 s82, s82, 0xffffff                               // 00000000583C: 8652FF52 00FFFFFF
	s_cmp_lt_u32 s82, s66                                      // 000000005844: BF0A4252
	s_cselect_b32 s21, s36, s60                                // 000000005848: 85153C24
	s_mov_b64 exec, s[20:21]                                   // 00000000584C: BEFE0114
	buffer_store_dword v48, v6, s[8:11], 0 offen               // 000000005850: E0701000 80023006
	buffer_store_dword v50, v6, s[8:11], 0 offen offset:128    // 000000005858: E0701080 80023206
	s_mov_b64 exec, s[36:37]                                   // 000000005860: BEFE0124
	v_mov_b32_e32 v6, v39                                      // 000000005864: 7E0C0327
	s_mov_b64 s[60:61], 0                                      // 000000005868: BEBC0180
	v_readlane_b32 s82, v3, 6                                  // 00000000586C: D2890052 00010D03
	s_and_b32 s82, s82, 0xffffff                               // 000000005874: 8652FF52 00FFFFFF
	s_cmp_lt_u32 s82, s66                                      // 00000000587C: BF0A4252
	s_cselect_b32 s20, s36, s60                                // 000000005880: 85143C24
	v_readlane_b32 s82, v3, 7                                  // 000000005884: D2890052 00010F03
	s_and_b32 s82, s82, 0xffffff                               // 00000000588C: 8652FF52 00FFFFFF
	s_cmp_lt_u32 s82, s66                                      // 000000005894: BF0A4252
	s_cselect_b32 s21, s36, s60                                // 000000005898: 85153C24
	s_mov_b64 exec, s[20:21]                                   // 00000000589C: BEFE0114
	buffer_store_dword v49, v6, s[8:11], 0 offen               // 0000000058A0: E0701000 80023106
	buffer_store_dword v51, v6, s[8:11], 0 offen offset:128    // 0000000058A8: E0701080 80023306
	s_mov_b64 exec, s[36:37]                                   // 0000000058B0: BEFE0124
	s_branch label_0DD3                                        // 0000000058B4: BF820222

00000000000058b8 <label_0BB1>:
	ds_write_b64 v20, v[44:45]                                 // 0000000058B8: D89A0000 00002C14
	ds_write_b64 v20, v[48:49] offset:4352                     // 0000000058C0: D89A1100 00003014
	ds_write_b64 v20, v[52:53] offset:2176                     // 0000000058C8: D89A0880 00003414
	ds_write_b64 v20, v[56:57] offset:6528                     // 0000000058D0: D89A1980 00003814
	v_lshrrev_b32_e32 v4, 5, v0                                // 0000000058D8: 20080085
	v_xor_b32_e32 v5, 1, v4                                    // 0000000058DC: 2A0A0881
	s_mul_i32 s60, s65, 2                                      // 0000000058E0: 923C8241
	s_cmp_eq_u32 s88, 0                                        // 0000000058E4: BF068058
	s_cselect_b32 s61, 1, 4                                    // 0000000058E8: 853D8481
	s_mul_i32 s60, s61, s60                                    // 0000000058EC: 923C3C3D
	v_readlane_b32 s82, v3, 0                                  // 0000000058F0: D2890052 00010103
	s_lshr_b32 s61, s82, 24                                    // 0000000058F8: 8F3D9852
	s_and_b32 s82, s82, 0xffffff                               // 0000000058FC: 8652FF52 00FFFFFF
	s_mul_i32 s82, s82, s71                                    // 000000005904: 92524752
	s_mul_i32 s61, s60, s61                                    // 000000005908: 923D3D3C
	s_add_u32 s82, s82, s61                                    // 00000000590C: 80523D52
	v_mul_lo_u32 v6, v5, s82                                   // 000000005910: D2850006 0000A505
	v_readlane_b32 s82, v3, 1                                  // 000000005918: D2890052 00010303
	s_lshr_b32 s61, s82, 24                                    // 000000005920: 8F3D9852
	s_and_b32 s82, s82, 0xffffff                               // 000000005924: 8652FF52 00FFFFFF
	s_mul_i32 s82, s82, s71                                    // 00000000592C: 92524752
	s_mul_i32 s61, s60, s61                                    // 000000005930: 923D3D3C
	s_add_u32 s82, s82, s61                                    // 000000005934: 80523D52
	v_mul_lo_u32 v7, v4, s82                                   // 000000005938: D2850007 0000A504
	v_add_u32_e32 v36, v6, v7                                  // 000000005940: 68480F06
	v_readlane_b32 s82, v3, 2                                  // 000000005944: D2890052 00010503
	s_lshr_b32 s61, s82, 24                                    // 00000000594C: 8F3D9852
	s_and_b32 s82, s82, 0xffffff                               // 000000005950: 8652FF52 00FFFFFF
	s_mul_i32 s82, s82, s71                                    // 000000005958: 92524752
	s_mul_i32 s61, s60, s61                                    // 00000000595C: 923D3D3C
	s_add_u32 s82, s82, s61                                    // 000000005960: 80523D52
	v_mul_lo_u32 v6, v5, s82                                   // 000000005964: D2850006 0000A505
	v_readlane_b32 s82, v3, 3                                  // 00000000596C: D2890052 00010703
	s_lshr_b32 s61, s82, 24                                    // 000000005974: 8F3D9852
	s_and_b32 s82, s82, 0xffffff                               // 000000005978: 8652FF52 00FFFFFF
	s_mul_i32 s82, s82, s71                                    // 000000005980: 92524752
	s_mul_i32 s61, s60, s61                                    // 000000005984: 923D3D3C
	s_add_u32 s82, s82, s61                                    // 000000005988: 80523D52
	v_mul_lo_u32 v7, v4, s82                                   // 00000000598C: D2850007 0000A504
	v_add_u32_e32 v37, v6, v7                                  // 000000005994: 684A0F06
	v_readlane_b32 s82, v3, 4                                  // 000000005998: D2890052 00010903
	s_lshr_b32 s61, s82, 24                                    // 0000000059A0: 8F3D9852
	s_and_b32 s82, s82, 0xffffff                               // 0000000059A4: 8652FF52 00FFFFFF
	s_mul_i32 s82, s82, s71                                    // 0000000059AC: 92524752
	s_mul_i32 s61, s60, s61                                    // 0000000059B0: 923D3D3C
	s_add_u32 s82, s82, s61                                    // 0000000059B4: 80523D52
	v_mul_lo_u32 v6, v5, s82                                   // 0000000059B8: D2850006 0000A505
	v_readlane_b32 s82, v3, 5                                  // 0000000059C0: D2890052 00010B03
	s_lshr_b32 s61, s82, 24                                    // 0000000059C8: 8F3D9852
	s_and_b32 s82, s82, 0xffffff                               // 0000000059CC: 8652FF52 00FFFFFF
	s_mul_i32 s82, s82, s71                                    // 0000000059D4: 92524752
	s_mul_i32 s61, s60, s61                                    // 0000000059D8: 923D3D3C
	s_add_u32 s82, s82, s61                                    // 0000000059DC: 80523D52
	v_mul_lo_u32 v7, v4, s82                                   // 0000000059E0: D2850007 0000A504
	v_add_u32_e32 v38, v6, v7                                  // 0000000059E8: 684C0F06
	v_readlane_b32 s82, v3, 6                                  // 0000000059EC: D2890052 00010D03
	s_lshr_b32 s61, s82, 24                                    // 0000000059F4: 8F3D9852
	s_and_b32 s82, s82, 0xffffff                               // 0000000059F8: 8652FF52 00FFFFFF
	s_mul_i32 s82, s82, s71                                    // 000000005A00: 92524752
	s_mul_i32 s61, s60, s61                                    // 000000005A04: 923D3D3C
	s_add_u32 s82, s82, s61                                    // 000000005A08: 80523D52
	v_mul_lo_u32 v6, v5, s82                                   // 000000005A0C: D2850006 0000A505
	v_readlane_b32 s82, v3, 7                                  // 000000005A14: D2890052 00010F03
	s_lshr_b32 s61, s82, 24                                    // 000000005A1C: 8F3D9852
	s_and_b32 s82, s82, 0xffffff                               // 000000005A20: 8652FF52 00FFFFFF
	s_mul_i32 s82, s82, s71                                    // 000000005A28: 92524752
	s_mul_i32 s61, s60, s61                                    // 000000005A2C: 923D3D3C
	s_add_u32 s82, s82, s61                                    // 000000005A30: 80523D52
	v_mul_lo_u32 v7, v4, s82                                   // 000000005A34: D2850007 0000A504
	v_add_u32_e32 v39, v6, v7                                  // 000000005A3C: 684E0F06
	v_and_b32_e32 v4, 31, v0                                   // 000000005A40: 2608009F
	v_lshrrev_b32_e32 v4, 1, v4                                // 000000005A44: 20080881
	s_cmp_eq_u32 s88, 0                                        // 000000005A48: BF068058
	s_cselect_b32 s61, 2, 4                                    // 000000005A4C: 853D8482
	v_mul_lo_u32 v4, v4, s61                                   // 000000005A50: D2850004 00007B04
	v_and_b32_e64 v5, v0, 1                                    // 000000005A58: D1130005 00010300
	v_add_u32_e32 v4, v4, v5                                   // 000000005A60: 68080B04
	v_lshlrev_b32_e32 v4, 2, v4                                // 000000005A64: 24080882
	v_add_u32_e32 v36, v36, v4                                 // 000000005A68: 68480924
	v_add_u32_e32 v37, v37, v4                                 // 000000005A6C: 684A0925
	v_add_u32_e32 v38, v38, v4                                 // 000000005A70: 684C0926
	v_add_u32_e32 v39, v39, v4                                 // 000000005A74: 684E0927
	s_waitcnt lgkmcnt(0)                                       // 000000005A78: BF8CC07F
	s_barrier                                                  // 000000005A7C: BF8A0000
	ds_read_b32 v44, v21                                       // 000000005A80: D86C0000 2C000015
	ds_read_b32 v45, v21 offset:64                             // 000000005A88: D86C0040 2D000015
	ds_read_b32 v48, v21 offset:2176                           // 000000005A90: D86C0880 30000015
	ds_read_b32 v49, v21 offset:2240                           // 000000005A98: D86C08C0 31000015
	ds_read_b32 v52, v21 offset:4352                           // 000000005AA0: D86C1100 34000015
	ds_read_b32 v53, v21 offset:4416                           // 000000005AA8: D86C1140 35000015
	ds_read_b32 v56, v21 offset:6528                           // 000000005AB0: D86C1980 38000015
	ds_read_b32 v57, v21 offset:6592                           // 000000005AB8: D86C19C0 39000015
	s_waitcnt lgkmcnt(0)                                       // 000000005AC0: BF8CC07F
	s_mov_b32 s36, -1                                          // 000000005AC4: BEA400C1
	s_mov_b32 s37, -1                                          // 000000005AC8: BEA500C1
	v_mov_b32_e32 v7, 0                                        // 000000005ACC: 7E0E0280
	s_mov_b64 exec, s[36:37]                                   // 000000005AD0: BEFE0124
	v_mov_b32_e32 v6, v36                                      // 000000005AD4: 7E0C0324
	s_mov_b64 s[60:61], 0                                      // 000000005AD8: BEBC0180
	v_readlane_b32 s82, v3, 0                                  // 000000005ADC: D2890052 00010103
	s_and_b32 s82, s82, 0xffffff                               // 000000005AE4: 8652FF52 00FFFFFF
	s_cmp_lt_u32 s82, s66                                      // 000000005AEC: BF0A4252
	s_cselect_b32 s20, s36, s60                                // 000000005AF0: 85143C24
	v_readlane_b32 s82, v3, 1                                  // 000000005AF4: D2890052 00010303
	s_and_b32 s82, s82, 0xffffff                               // 000000005AFC: 8652FF52 00FFFFFF
	s_cmp_lt_u32 s82, s66                                      // 000000005B04: BF0A4252
	s_cselect_b32 s21, s36, s60                                // 000000005B08: 85153C24
	s_mov_b64 exec, s[20:21]                                   // 000000005B0C: BEFE0114
	global_atomic_add_f32 v6, v44, s[8:9]                      // 000000005B10: DD348000 00082C06
	global_atomic_add_f32 v6, v48, s[8:9] offset:256           // 000000005B18: DD348100 00083006
	s_mov_b64 exec, s[36:37]                                   // 000000005B20: BEFE0124
	v_mov_b32_e32 v6, v37                                      // 000000005B24: 7E0C0325
	s_mov_b64 s[60:61], 0                                      // 000000005B28: BEBC0180
	v_readlane_b32 s82, v3, 2                                  // 000000005B2C: D2890052 00010503
	s_and_b32 s82, s82, 0xffffff                               // 000000005B34: 8652FF52 00FFFFFF
	s_cmp_lt_u32 s82, s66                                      // 000000005B3C: BF0A4252
	s_cselect_b32 s20, s36, s60                                // 000000005B40: 85143C24
	v_readlane_b32 s82, v3, 3                                  // 000000005B44: D2890052 00010703
	s_and_b32 s82, s82, 0xffffff                               // 000000005B4C: 8652FF52 00FFFFFF
	s_cmp_lt_u32 s82, s66                                      // 000000005B54: BF0A4252
	s_cselect_b32 s21, s36, s60                                // 000000005B58: 85153C24
	s_mov_b64 exec, s[20:21]                                   // 000000005B5C: BEFE0114
	global_atomic_add_f32 v6, v45, s[8:9]                      // 000000005B60: DD348000 00082D06
	global_atomic_add_f32 v6, v49, s[8:9] offset:256           // 000000005B68: DD348100 00083106
	s_mov_b64 exec, s[36:37]                                   // 000000005B70: BEFE0124
	v_mov_b32_e32 v6, v38                                      // 000000005B74: 7E0C0326
	s_mov_b64 s[60:61], 0                                      // 000000005B78: BEBC0180
	v_readlane_b32 s82, v3, 4                                  // 000000005B7C: D2890052 00010903
	s_and_b32 s82, s82, 0xffffff                               // 000000005B84: 8652FF52 00FFFFFF
	s_cmp_lt_u32 s82, s66                                      // 000000005B8C: BF0A4252
	s_cselect_b32 s20, s36, s60                                // 000000005B90: 85143C24
	v_readlane_b32 s82, v3, 5                                  // 000000005B94: D2890052 00010B03
	s_and_b32 s82, s82, 0xffffff                               // 000000005B9C: 8652FF52 00FFFFFF
	s_cmp_lt_u32 s82, s66                                      // 000000005BA4: BF0A4252
	s_cselect_b32 s21, s36, s60                                // 000000005BA8: 85153C24
	s_mov_b64 exec, s[20:21]                                   // 000000005BAC: BEFE0114
	global_atomic_add_f32 v6, v52, s[8:9]                      // 000000005BB0: DD348000 00083406
	global_atomic_add_f32 v6, v56, s[8:9] offset:256           // 000000005BB8: DD348100 00083806
	s_mov_b64 exec, s[36:37]                                   // 000000005BC0: BEFE0124
	v_mov_b32_e32 v6, v39                                      // 000000005BC4: 7E0C0327
	s_mov_b64 s[60:61], 0                                      // 000000005BC8: BEBC0180
	v_readlane_b32 s82, v3, 6                                  // 000000005BCC: D2890052 00010D03
	s_and_b32 s82, s82, 0xffffff                               // 000000005BD4: 8652FF52 00FFFFFF
	s_cmp_lt_u32 s82, s66                                      // 000000005BDC: BF0A4252
	s_cselect_b32 s20, s36, s60                                // 000000005BE0: 85143C24
	v_readlane_b32 s82, v3, 7                                  // 000000005BE4: D2890052 00010F03
	s_and_b32 s82, s82, 0xffffff                               // 000000005BEC: 8652FF52 00FFFFFF
	s_cmp_lt_u32 s82, s66                                      // 000000005BF4: BF0A4252
	s_cselect_b32 s21, s36, s60                                // 000000005BF8: 85153C24
	s_mov_b64 exec, s[20:21]                                   // 000000005BFC: BEFE0114
	global_atomic_add_f32 v6, v53, s[8:9]                      // 000000005C00: DD348000 00083506
	global_atomic_add_f32 v6, v57, s[8:9] offset:256           // 000000005C08: DD348100 00083906
	s_mov_b64 exec, s[36:37]                                   // 000000005C10: BEFE0124
	ds_write_b64 v20, v[46:47]                                 // 000000005C14: D89A0000 00002E14
	ds_write_b64 v20, v[50:51] offset:4352                     // 000000005C1C: D89A1100 00003214
	ds_write_b64 v20, v[54:55] offset:2176                     // 000000005C24: D89A0880 00003614
	ds_write_b64 v20, v[58:59] offset:6528                     // 000000005C2C: D89A1980 00003A14
	s_waitcnt lgkmcnt(0)                                       // 000000005C34: BF8CC07F
	s_barrier                                                  // 000000005C38: BF8A0000
	ds_read_b32 v46, v21                                       // 000000005C3C: D86C0000 2E000015
	ds_read_b32 v47, v21 offset:64                             // 000000005C44: D86C0040 2F000015
	ds_read_b32 v50, v21 offset:2176                           // 000000005C4C: D86C0880 32000015
	ds_read_b32 v51, v21 offset:2240                           // 000000005C54: D86C08C0 33000015
	ds_read_b32 v54, v21 offset:4352                           // 000000005C5C: D86C1100 36000015
	ds_read_b32 v55, v21 offset:4416                           // 000000005C64: D86C1140 37000015
	ds_read_b32 v58, v21 offset:6528                           // 000000005C6C: D86C1980 3A000015
	ds_read_b32 v59, v21 offset:6592                           // 000000005C74: D86C19C0 3B000015
	s_waitcnt lgkmcnt(0)                                       // 000000005C7C: BF8CC07F
	v_mov_b32_e32 v7, 0                                        // 000000005C80: 7E0E0280
	s_mov_b64 exec, s[36:37]                                   // 000000005C84: BEFE0124
	v_mov_b32_e32 v6, v36                                      // 000000005C88: 7E0C0324
	s_mov_b64 s[60:61], 0                                      // 000000005C8C: BEBC0180
	v_readlane_b32 s82, v3, 0                                  // 000000005C90: D2890052 00010103
	s_and_b32 s82, s82, 0xffffff                               // 000000005C98: 8652FF52 00FFFFFF
	s_cmp_lt_u32 s82, s66                                      // 000000005CA0: BF0A4252
	s_cselect_b32 s20, s36, s60                                // 000000005CA4: 85143C24
	v_readlane_b32 s82, v3, 1                                  // 000000005CA8: D2890052 00010303
	s_and_b32 s82, s82, 0xffffff                               // 000000005CB0: 8652FF52 00FFFFFF
	s_cmp_lt_u32 s82, s66                                      // 000000005CB8: BF0A4252
	s_cselect_b32 s21, s36, s60                                // 000000005CBC: 85153C24
	s_mov_b64 exec, s[20:21]                                   // 000000005CC0: BEFE0114
	global_atomic_add_f32 v6, v46, s[8:9] offset:8             // 000000005CC4: DD348008 00082E06
	global_atomic_add_f32 v6, v50, s[8:9] offset:264           // 000000005CCC: DD348108 00083206
	s_mov_b64 exec, s[36:37]                                   // 000000005CD4: BEFE0124
	v_mov_b32_e32 v6, v37                                      // 000000005CD8: 7E0C0325
	s_mov_b64 s[60:61], 0                                      // 000000005CDC: BEBC0180
	v_readlane_b32 s82, v3, 2                                  // 000000005CE0: D2890052 00010503
	s_and_b32 s82, s82, 0xffffff                               // 000000005CE8: 8652FF52 00FFFFFF
	s_cmp_lt_u32 s82, s66                                      // 000000005CF0: BF0A4252
	s_cselect_b32 s20, s36, s60                                // 000000005CF4: 85143C24
	v_readlane_b32 s82, v3, 3                                  // 000000005CF8: D2890052 00010703
	s_and_b32 s82, s82, 0xffffff                               // 000000005D00: 8652FF52 00FFFFFF
	s_cmp_lt_u32 s82, s66                                      // 000000005D08: BF0A4252
	s_cselect_b32 s21, s36, s60                                // 000000005D0C: 85153C24
	s_mov_b64 exec, s[20:21]                                   // 000000005D10: BEFE0114
	global_atomic_add_f32 v6, v47, s[8:9] offset:8             // 000000005D14: DD348008 00082F06
	global_atomic_add_f32 v6, v51, s[8:9] offset:264           // 000000005D1C: DD348108 00083306
	s_mov_b64 exec, s[36:37]                                   // 000000005D24: BEFE0124
	v_mov_b32_e32 v6, v38                                      // 000000005D28: 7E0C0326
	s_mov_b64 s[60:61], 0                                      // 000000005D2C: BEBC0180
	v_readlane_b32 s82, v3, 4                                  // 000000005D30: D2890052 00010903
	s_and_b32 s82, s82, 0xffffff                               // 000000005D38: 8652FF52 00FFFFFF
	s_cmp_lt_u32 s82, s66                                      // 000000005D40: BF0A4252
	s_cselect_b32 s20, s36, s60                                // 000000005D44: 85143C24
	v_readlane_b32 s82, v3, 5                                  // 000000005D48: D2890052 00010B03
	s_and_b32 s82, s82, 0xffffff                               // 000000005D50: 8652FF52 00FFFFFF
	s_cmp_lt_u32 s82, s66                                      // 000000005D58: BF0A4252
	s_cselect_b32 s21, s36, s60                                // 000000005D5C: 85153C24
	s_mov_b64 exec, s[20:21]                                   // 000000005D60: BEFE0114
	global_atomic_add_f32 v6, v54, s[8:9] offset:8             // 000000005D64: DD348008 00083606
	global_atomic_add_f32 v6, v58, s[8:9] offset:264           // 000000005D6C: DD348108 00083A06
	s_mov_b64 exec, s[36:37]                                   // 000000005D74: BEFE0124
	v_mov_b32_e32 v6, v39                                      // 000000005D78: 7E0C0327
	s_mov_b64 s[60:61], 0                                      // 000000005D7C: BEBC0180
	v_readlane_b32 s82, v3, 6                                  // 000000005D80: D2890052 00010D03
	s_and_b32 s82, s82, 0xffffff                               // 000000005D88: 8652FF52 00FFFFFF
	s_cmp_lt_u32 s82, s66                                      // 000000005D90: BF0A4252
	s_cselect_b32 s20, s36, s60                                // 000000005D94: 85143C24
	v_readlane_b32 s82, v3, 7                                  // 000000005D98: D2890052 00010F03
	s_and_b32 s82, s82, 0xffffff                               // 000000005DA0: 8652FF52 00FFFFFF
	s_cmp_lt_u32 s82, s66                                      // 000000005DA8: BF0A4252
	s_cselect_b32 s21, s36, s60                                // 000000005DAC: 85153C24
	s_mov_b64 exec, s[20:21]                                   // 000000005DB0: BEFE0114
	global_atomic_add_f32 v6, v55, s[8:9] offset:8             // 000000005DB4: DD348008 00083706
	global_atomic_add_f32 v6, v59, s[8:9] offset:264           // 000000005DBC: DD348108 00083B06
	s_mov_b64 exec, s[36:37]                                   // 000000005DC4: BEFE0124
	ds_write_b64 v20, v[60:61]                                 // 000000005DC8: D89A0000 00003C14
	ds_write_b64 v20, v[64:65] offset:4352                     // 000000005DD0: D89A1100 00004014
	ds_write_b64 v20, v[68:69] offset:2176                     // 000000005DD8: D89A0880 00004414
	ds_write_b64 v20, v[72:73] offset:6528                     // 000000005DE0: D89A1980 00004814
	s_waitcnt lgkmcnt(0)                                       // 000000005DE8: BF8CC07F
	s_barrier                                                  // 000000005DEC: BF8A0000
	ds_read_b32 v60, v21                                       // 000000005DF0: D86C0000 3C000015
	ds_read_b32 v61, v21 offset:64                             // 000000005DF8: D86C0040 3D000015
	ds_read_b32 v64, v21 offset:2176                           // 000000005E00: D86C0880 40000015
	ds_read_b32 v65, v21 offset:2240                           // 000000005E08: D86C08C0 41000015
	ds_read_b32 v68, v21 offset:4352                           // 000000005E10: D86C1100 44000015
	ds_read_b32 v69, v21 offset:4416                           // 000000005E18: D86C1140 45000015
	ds_read_b32 v72, v21 offset:6528                           // 000000005E20: D86C1980 48000015
	ds_read_b32 v73, v21 offset:6592                           // 000000005E28: D86C19C0 49000015
	s_mul_i32 s60, s65, 4                                      // 000000005E30: 923C8441
	s_add_u32 s8, s60, s8                                      // 000000005E34: 8008083C
	s_addc_u32 s9, 0, s9                                       // 000000005E38: 82090980
	s_waitcnt lgkmcnt(0)                                       // 000000005E3C: BF8CC07F
	v_mov_b32_e32 v7, 0                                        // 000000005E40: 7E0E0280
	s_mov_b64 exec, s[36:37]                                   // 000000005E44: BEFE0124
	v_mov_b32_e32 v6, v36                                      // 000000005E48: 7E0C0324
	s_mov_b64 s[60:61], 0                                      // 000000005E4C: BEBC0180
	v_readlane_b32 s82, v3, 0                                  // 000000005E50: D2890052 00010103
	s_and_b32 s82, s82, 0xffffff                               // 000000005E58: 8652FF52 00FFFFFF
	s_cmp_lt_u32 s82, s66                                      // 000000005E60: BF0A4252
	s_cselect_b32 s20, s36, s60                                // 000000005E64: 85143C24
	v_readlane_b32 s82, v3, 1                                  // 000000005E68: D2890052 00010303
	s_and_b32 s82, s82, 0xffffff                               // 000000005E70: 8652FF52 00FFFFFF
	s_cmp_lt_u32 s82, s66                                      // 000000005E78: BF0A4252
	s_cselect_b32 s21, s36, s60                                // 000000005E7C: 85153C24
	s_mov_b64 exec, s[20:21]                                   // 000000005E80: BEFE0114
	global_atomic_add_f32 v6, v60, s[8:9]                      // 000000005E84: DD348000 00083C06
	global_atomic_add_f32 v6, v64, s[8:9] offset:256           // 000000005E8C: DD348100 00084006
	s_mov_b64 exec, s[36:37]                                   // 000000005E94: BEFE0124
	v_mov_b32_e32 v6, v37                                      // 000000005E98: 7E0C0325
	s_mov_b64 s[60:61], 0                                      // 000000005E9C: BEBC0180
	v_readlane_b32 s82, v3, 2                                  // 000000005EA0: D2890052 00010503
	s_and_b32 s82, s82, 0xffffff                               // 000000005EA8: 8652FF52 00FFFFFF
	s_cmp_lt_u32 s82, s66                                      // 000000005EB0: BF0A4252
	s_cselect_b32 s20, s36, s60                                // 000000005EB4: 85143C24
	v_readlane_b32 s82, v3, 3                                  // 000000005EB8: D2890052 00010703
	s_and_b32 s82, s82, 0xffffff                               // 000000005EC0: 8652FF52 00FFFFFF
	s_cmp_lt_u32 s82, s66                                      // 000000005EC8: BF0A4252
	s_cselect_b32 s21, s36, s60                                // 000000005ECC: 85153C24
	s_mov_b64 exec, s[20:21]                                   // 000000005ED0: BEFE0114
	global_atomic_add_f32 v6, v61, s[8:9]                      // 000000005ED4: DD348000 00083D06
	global_atomic_add_f32 v6, v65, s[8:9] offset:256           // 000000005EDC: DD348100 00084106
	s_mov_b64 exec, s[36:37]                                   // 000000005EE4: BEFE0124
	v_mov_b32_e32 v6, v38                                      // 000000005EE8: 7E0C0326
	s_mov_b64 s[60:61], 0                                      // 000000005EEC: BEBC0180
	v_readlane_b32 s82, v3, 4                                  // 000000005EF0: D2890052 00010903
	s_and_b32 s82, s82, 0xffffff                               // 000000005EF8: 8652FF52 00FFFFFF
	s_cmp_lt_u32 s82, s66                                      // 000000005F00: BF0A4252
	s_cselect_b32 s20, s36, s60                                // 000000005F04: 85143C24
	v_readlane_b32 s82, v3, 5                                  // 000000005F08: D2890052 00010B03
	s_and_b32 s82, s82, 0xffffff                               // 000000005F10: 8652FF52 00FFFFFF
	s_cmp_lt_u32 s82, s66                                      // 000000005F18: BF0A4252
	s_cselect_b32 s21, s36, s60                                // 000000005F1C: 85153C24
	s_mov_b64 exec, s[20:21]                                   // 000000005F20: BEFE0114
	global_atomic_add_f32 v6, v68, s[8:9]                      // 000000005F24: DD348000 00084406
	global_atomic_add_f32 v6, v72, s[8:9] offset:256           // 000000005F2C: DD348100 00084806
	s_mov_b64 exec, s[36:37]                                   // 000000005F34: BEFE0124
	v_mov_b32_e32 v6, v39                                      // 000000005F38: 7E0C0327
	s_mov_b64 s[60:61], 0                                      // 000000005F3C: BEBC0180
	v_readlane_b32 s82, v3, 6                                  // 000000005F40: D2890052 00010D03
	s_and_b32 s82, s82, 0xffffff                               // 000000005F48: 8652FF52 00FFFFFF
	s_cmp_lt_u32 s82, s66                                      // 000000005F50: BF0A4252
	s_cselect_b32 s20, s36, s60                                // 000000005F54: 85143C24
	v_readlane_b32 s82, v3, 7                                  // 000000005F58: D2890052 00010F03
	s_and_b32 s82, s82, 0xffffff                               // 000000005F60: 8652FF52 00FFFFFF
	s_cmp_lt_u32 s82, s66                                      // 000000005F68: BF0A4252
	s_cselect_b32 s21, s36, s60                                // 000000005F6C: 85153C24
	s_mov_b64 exec, s[20:21]                                   // 000000005F70: BEFE0114
	global_atomic_add_f32 v6, v69, s[8:9]                      // 000000005F74: DD348000 00084506
	global_atomic_add_f32 v6, v73, s[8:9] offset:256           // 000000005F7C: DD348100 00084906
	s_mov_b64 exec, s[36:37]                                   // 000000005F84: BEFE0124
	ds_write_b64 v20, v[62:63]                                 // 000000005F88: D89A0000 00003E14
	ds_write_b64 v20, v[66:67] offset:4352                     // 000000005F90: D89A1100 00004214
	ds_write_b64 v20, v[70:71] offset:2176                     // 000000005F98: D89A0880 00004614
	ds_write_b64 v20, v[74:75] offset:6528                     // 000000005FA0: D89A1980 00004A14
	s_waitcnt lgkmcnt(0)                                       // 000000005FA8: BF8CC07F
	s_barrier                                                  // 000000005FAC: BF8A0000
	ds_read_b32 v62, v21                                       // 000000005FB0: D86C0000 3E000015
	ds_read_b32 v63, v21 offset:64                             // 000000005FB8: D86C0040 3F000015
	ds_read_b32 v66, v21 offset:2176                           // 000000005FC0: D86C0880 42000015
	ds_read_b32 v67, v21 offset:2240                           // 000000005FC8: D86C08C0 43000015
	ds_read_b32 v70, v21 offset:4352                           // 000000005FD0: D86C1100 46000015
	ds_read_b32 v71, v21 offset:4416                           // 000000005FD8: D86C1140 47000015
	ds_read_b32 v74, v21 offset:6528                           // 000000005FE0: D86C1980 4A000015
	ds_read_b32 v75, v21 offset:6592                           // 000000005FE8: D86C19C0 4B000015
	s_waitcnt lgkmcnt(0)                                       // 000000005FF0: BF8CC07F
	v_mov_b32_e32 v7, 0                                        // 000000005FF4: 7E0E0280
	s_mov_b64 exec, s[36:37]                                   // 000000005FF8: BEFE0124
	v_mov_b32_e32 v6, v36                                      // 000000005FFC: 7E0C0324
	s_mov_b64 s[60:61], 0                                      // 000000006000: BEBC0180
	v_readlane_b32 s82, v3, 0                                  // 000000006004: D2890052 00010103
	s_and_b32 s82, s82, 0xffffff                               // 00000000600C: 8652FF52 00FFFFFF
	s_cmp_lt_u32 s82, s66                                      // 000000006014: BF0A4252
	s_cselect_b32 s20, s36, s60                                // 000000006018: 85143C24
	v_readlane_b32 s82, v3, 1                                  // 00000000601C: D2890052 00010303
	s_and_b32 s82, s82, 0xffffff                               // 000000006024: 8652FF52 00FFFFFF
	s_cmp_lt_u32 s82, s66                                      // 00000000602C: BF0A4252
	s_cselect_b32 s21, s36, s60                                // 000000006030: 85153C24
	s_mov_b64 exec, s[20:21]                                   // 000000006034: BEFE0114
	global_atomic_add_f32 v6, v62, s[8:9] offset:8             // 000000006038: DD348008 00083E06
	global_atomic_add_f32 v6, v66, s[8:9] offset:264           // 000000006040: DD348108 00084206
	s_mov_b64 exec, s[36:37]                                   // 000000006048: BEFE0124
	v_mov_b32_e32 v6, v37                                      // 00000000604C: 7E0C0325
	s_mov_b64 s[60:61], 0                                      // 000000006050: BEBC0180
	v_readlane_b32 s82, v3, 2                                  // 000000006054: D2890052 00010503
	s_and_b32 s82, s82, 0xffffff                               // 00000000605C: 8652FF52 00FFFFFF
	s_cmp_lt_u32 s82, s66                                      // 000000006064: BF0A4252
	s_cselect_b32 s20, s36, s60                                // 000000006068: 85143C24
	v_readlane_b32 s82, v3, 3                                  // 00000000606C: D2890052 00010703
	s_and_b32 s82, s82, 0xffffff                               // 000000006074: 8652FF52 00FFFFFF
	s_cmp_lt_u32 s82, s66                                      // 00000000607C: BF0A4252
	s_cselect_b32 s21, s36, s60                                // 000000006080: 85153C24
	s_mov_b64 exec, s[20:21]                                   // 000000006084: BEFE0114
	global_atomic_add_f32 v6, v63, s[8:9] offset:8             // 000000006088: DD348008 00083F06
	global_atomic_add_f32 v6, v67, s[8:9] offset:264           // 000000006090: DD348108 00084306
	s_mov_b64 exec, s[36:37]                                   // 000000006098: BEFE0124
	v_mov_b32_e32 v6, v38                                      // 00000000609C: 7E0C0326
	s_mov_b64 s[60:61], 0                                      // 0000000060A0: BEBC0180
	v_readlane_b32 s82, v3, 4                                  // 0000000060A4: D2890052 00010903
	s_and_b32 s82, s82, 0xffffff                               // 0000000060AC: 8652FF52 00FFFFFF
	s_cmp_lt_u32 s82, s66                                      // 0000000060B4: BF0A4252
	s_cselect_b32 s20, s36, s60                                // 0000000060B8: 85143C24
	v_readlane_b32 s82, v3, 5                                  // 0000000060BC: D2890052 00010B03
	s_and_b32 s82, s82, 0xffffff                               // 0000000060C4: 8652FF52 00FFFFFF
	s_cmp_lt_u32 s82, s66                                      // 0000000060CC: BF0A4252
	s_cselect_b32 s21, s36, s60                                // 0000000060D0: 85153C24
	s_mov_b64 exec, s[20:21]                                   // 0000000060D4: BEFE0114
	global_atomic_add_f32 v6, v70, s[8:9] offset:8             // 0000000060D8: DD348008 00084606
	global_atomic_add_f32 v6, v74, s[8:9] offset:264           // 0000000060E0: DD348108 00084A06
	s_mov_b64 exec, s[36:37]                                   // 0000000060E8: BEFE0124
	v_mov_b32_e32 v6, v39                                      // 0000000060EC: 7E0C0327
	s_mov_b64 s[60:61], 0                                      // 0000000060F0: BEBC0180
	v_readlane_b32 s82, v3, 6                                  // 0000000060F4: D2890052 00010D03
	s_and_b32 s82, s82, 0xffffff                               // 0000000060FC: 8652FF52 00FFFFFF
	s_cmp_lt_u32 s82, s66                                      // 000000006104: BF0A4252
	s_cselect_b32 s20, s36, s60                                // 000000006108: 85143C24
	v_readlane_b32 s82, v3, 7                                  // 00000000610C: D2890052 00010F03
	s_and_b32 s82, s82, 0xffffff                               // 000000006114: 8652FF52 00FFFFFF
	s_cmp_lt_u32 s82, s66                                      // 00000000611C: BF0A4252
	s_cselect_b32 s21, s36, s60                                // 000000006120: 85153C24
	s_mov_b64 exec, s[20:21]                                   // 000000006124: BEFE0114
	global_atomic_add_f32 v6, v71, s[8:9] offset:8             // 000000006128: DD348008 00084706
	global_atomic_add_f32 v6, v75, s[8:9] offset:264           // 000000006130: DD348108 00084B06
	s_mov_b64 exec, s[36:37]                                   // 000000006138: BEFE0124
	s_branch label_0DD3                                        // 00000000613C: BF820000

0000000000006140 <label_0DD3>:
	s_waitcnt vmcnt(0) expcnt(0) lgkmcnt(0)                    // 000000006140: BF8C0000
	s_endpgm                                                   // 000000006144: BF810000
